;; amdgpu-corpus repo=ROCm/rocFFT kind=compiled arch=gfx1030 opt=O3
	.text
	.amdgcn_target "amdgcn-amd-amdhsa--gfx1030"
	.amdhsa_code_object_version 6
	.protected	bluestein_single_fwd_len1755_dim1_dp_op_CI_CI ; -- Begin function bluestein_single_fwd_len1755_dim1_dp_op_CI_CI
	.globl	bluestein_single_fwd_len1755_dim1_dp_op_CI_CI
	.p2align	8
	.type	bluestein_single_fwd_len1755_dim1_dp_op_CI_CI,@function
bluestein_single_fwd_len1755_dim1_dp_op_CI_CI: ; @bluestein_single_fwd_len1755_dim1_dp_op_CI_CI
; %bb.0:
	s_load_dwordx4 s[8:11], s[4:5], 0x28
	v_mul_u32_u24_e32 v1, 0x231, v0
	s_mov_b64 s[50:51], s[2:3]
	s_mov_b64 s[48:49], s[0:1]
	v_mov_b32_e32 v8, 0
	s_add_u32 s48, s48, s7
	v_lshrrev_b32_e32 v1, 16, v1
	s_addc_u32 s49, s49, 0
	s_mov_b32 s0, exec_lo
	v_add_nc_u32_e32 v7, s6, v1
	s_waitcnt lgkmcnt(0)
	v_cmpx_gt_u64_e64 s[8:9], v[7:8]
	s_cbranch_execz .LBB0_15
; %bb.1:
	s_clause 0x1
	s_load_dwordx4 s[0:3], s[4:5], 0x18
	s_load_dwordx2 s[6:7], s[4:5], 0x0
	v_mul_lo_u16 v1, 0x75, v1
	v_mov_b32_e32 v8, v7
	v_sub_nc_u16 v2, v0, v1
	v_and_b32_e32 v193, 0xffff, v2
	v_lshlrev_b32_e32 v192, 4, v193
	s_waitcnt lgkmcnt(0)
	s_load_dwordx4 s[12:15], s[0:1], 0x0
	v_add_co_u32 v84, s0, s6, v192
	v_add_co_ci_u32_e64 v85, null, s7, 0, s0
	global_load_dwordx4 v[75:78], v192, s[6:7]
	v_add_co_u32 v10, vcc_lo, 0x800, v84
	v_add_co_ci_u32_e32 v11, vcc_lo, 0, v85, vcc_lo
	v_add_co_u32 v0, vcc_lo, 0x1000, v84
	v_add_co_ci_u32_e32 v1, vcc_lo, 0, v85, vcc_lo
	buffer_store_dword v8, off, s[48:51], 0 offset:264 ; 4-byte Folded Spill
	buffer_store_dword v9, off, s[48:51], 0 offset:268 ; 4-byte Folded Spill
	v_add_co_u32 v21, vcc_lo, 0x1800, v84
	global_load_dwordx4 v[142:145], v[0:1], off offset:224
	buffer_store_dword v10, off, s[48:51], 0 offset:176 ; 4-byte Folded Spill
	buffer_store_dword v11, off, s[48:51], 0 offset:180 ; 4-byte Folded Spill
	v_add_co_ci_u32_e32 v22, vcc_lo, 0, v85, vcc_lo
	v_add_co_u32 v19, vcc_lo, 0x2000, v84
	v_add_co_ci_u32_e32 v20, vcc_lo, 0, v85, vcc_lo
	v_add_co_u32 v15, vcc_lo, 0x2800, v84
	;; [unrolled: 2-line block ×4, first 2 shown]
	v_add_co_ci_u32_e32 v14, vcc_lo, 0, v85, vcc_lo
	s_waitcnt lgkmcnt(0)
	v_mad_u64_u32 v[3:4], null, s14, v7, 0
	v_mad_u64_u32 v[5:6], null, s12, v193, 0
	v_add_co_u32 v45, vcc_lo, 0x4000, v84
	v_add_co_ci_u32_e32 v46, vcc_lo, 0, v85, vcc_lo
	v_add_co_u32 v43, vcc_lo, 0x4800, v84
	v_mad_u64_u32 v[7:8], null, s15, v7, v[4:5]
	v_add_co_ci_u32_e32 v44, vcc_lo, 0, v85, vcc_lo
	s_mul_i32 s1, s13, 0x87
	s_mul_hi_u32 s6, s12, 0x87
	s_mul_i32 s0, s12, 0x87
	s_add_i32 s1, s6, s1
	v_mad_u64_u32 v[8:9], null, s13, v193, v[6:7]
	v_mov_b32_e32 v4, v7
	s_lshl_b64 s[14:15], s[0:1], 4
	v_lshlrev_b64 v[0:1], 4, v[3:4]
	v_mov_b32_e32 v6, v8
	v_lshlrev_b64 v[3:4], 4, v[5:6]
	v_add_co_u32 v0, vcc_lo, s10, v0
	v_add_co_ci_u32_e32 v1, vcc_lo, s11, v1, vcc_lo
	v_add_co_u32 v0, vcc_lo, v0, v3
	v_add_co_ci_u32_e32 v1, vcc_lo, v1, v4, vcc_lo
	v_add_co_u32 v7, vcc_lo, v0, s14
	v_add_co_ci_u32_e32 v8, vcc_lo, s15, v1, vcc_lo
	global_load_dwordx4 v[79:82], v[10:11], off offset:112
	buffer_store_dword v21, off, s[48:51], 0 offset:256 ; 4-byte Folded Spill
	buffer_store_dword v22, off, s[48:51], 0 offset:260 ; 4-byte Folded Spill
	v_add_co_u32 v11, vcc_lo, v7, s14
	v_add_co_ci_u32_e32 v12, vcc_lo, s15, v8, vcc_lo
	global_load_dwordx4 v[138:141], v[21:22], off offset:336
	buffer_store_dword v19, off, s[48:51], 0 offset:232 ; 4-byte Folded Spill
	buffer_store_dword v20, off, s[48:51], 0 offset:236 ; 4-byte Folded Spill
	global_load_dwordx4 v[134:137], v[19:20], off offset:448
	buffer_store_dword v15, off, s[48:51], 0 offset:224 ; 4-byte Folded Spill
	buffer_store_dword v16, off, s[48:51], 0 offset:228 ; 4-byte Folded Spill
	;; [unrolled: 3-line block ×3, first 2 shown]
	v_add_co_u32 v15, vcc_lo, v11, s14
	v_add_co_ci_u32_e32 v16, vcc_lo, s15, v12, vcc_lo
	v_add_co_u32 v19, vcc_lo, v15, s14
	v_add_co_ci_u32_e32 v20, vcc_lo, s15, v16, vcc_lo
	global_load_dwordx4 v[106:109], v[17:18], off offset:672
	buffer_store_dword v13, off, s[48:51], 0 offset:200 ; 4-byte Folded Spill
	buffer_store_dword v14, off, s[48:51], 0 offset:204 ; 4-byte Folded Spill
	global_load_dwordx4 v[102:105], v[13:14], off offset:784
	s_clause 0x1
	global_load_dwordx4 v[3:6], v[0:1], off
	global_load_dwordx4 v[7:10], v[7:8], off
	v_add_co_u32 v0, vcc_lo, v19, s14
	v_add_co_ci_u32_e32 v1, vcc_lo, s15, v20, vcc_lo
	global_load_dwordx4 v[11:14], v[11:12], off
	v_add_co_u32 v27, vcc_lo, v0, s14
	v_add_co_ci_u32_e32 v28, vcc_lo, s15, v1, vcc_lo
	s_clause 0x1
	global_load_dwordx4 v[15:18], v[15:16], off
	global_load_dwordx4 v[19:22], v[19:20], off
	v_add_co_u32 v31, vcc_lo, v27, s14
	v_add_co_ci_u32_e32 v32, vcc_lo, s15, v28, vcc_lo
	global_load_dwordx4 v[23:26], v[0:1], off
	v_add_co_u32 v0, vcc_lo, v31, s14
	v_add_co_ci_u32_e32 v1, vcc_lo, s15, v32, vcc_lo
	;; [unrolled: 3-line block ×4, first 2 shown]
	global_load_dwordx4 v[35:38], v[0:1], off
	global_load_dwordx4 v[39:42], v[39:40], off
	buffer_store_dword v45, off, s[48:51], 0 offset:192 ; 4-byte Folded Spill
	buffer_store_dword v46, off, s[48:51], 0 offset:196 ; 4-byte Folded Spill
	v_add_co_u32 v49, vcc_lo, 0x5000, v84
	v_add_co_ci_u32_e32 v50, vcc_lo, 0, v85, vcc_lo
	s_waitcnt vmcnt(9)
	v_mul_f64 v[55:56], v[5:6], v[77:78]
	s_waitcnt vmcnt(8)
	v_mul_f64 v[59:60], v[9:10], v[81:82]
	v_mul_f64 v[57:58], v[3:4], v[77:78]
	v_mul_f64 v[61:62], v[7:8], v[81:82]
	s_waitcnt vmcnt(7)
	v_mul_f64 v[63:64], v[13:14], v[144:145]
	v_mul_f64 v[65:66], v[11:12], v[144:145]
	s_waitcnt vmcnt(6)
	v_mul_f64 v[67:68], v[17:18], v[140:141]
	s_waitcnt vmcnt(5)
	v_mul_f64 v[71:72], v[21:22], v[136:137]
	v_mul_f64 v[69:70], v[15:16], v[140:141]
	;; [unrolled: 1-line block ×3, first 2 shown]
	v_fma_f64 v[3:4], v[3:4], v[75:76], v[55:56]
	v_fma_f64 v[7:8], v[7:8], v[79:80], v[59:60]
	s_waitcnt vmcnt(4)
	v_mul_f64 v[55:56], v[25:26], v[112:113]
	s_waitcnt vmcnt(3)
	v_mul_f64 v[59:60], v[29:30], v[108:109]
	v_fma_f64 v[11:12], v[11:12], v[142:143], v[63:64]
	global_load_dwordx4 v[118:121], v[45:46], off offset:896
	buffer_store_dword v43, off, s[48:51], 0 offset:184 ; 4-byte Folded Spill
	buffer_store_dword v44, off, s[48:51], 0 offset:188 ; 4-byte Folded Spill
	v_fma_f64 v[15:16], v[15:16], v[138:139], v[67:68]
	v_fma_f64 v[19:20], v[19:20], v[134:135], v[71:72]
	global_load_dwordx4 v[114:117], v[43:44], off offset:1008
	global_load_dwordx4 v[43:46], v[47:48], off
	buffer_store_dword v49, off, s[48:51], 0 offset:248 ; 4-byte Folded Spill
	buffer_store_dword v50, off, s[48:51], 0 offset:252 ; 4-byte Folded Spill
	v_add_co_u32 v47, vcc_lo, v47, s14
	v_add_co_ci_u32_e32 v48, vcc_lo, s15, v48, vcc_lo
	v_add_co_u32 v53, vcc_lo, 0x5800, v84
	v_add_co_ci_u32_e32 v54, vcc_lo, 0, v85, vcc_lo
	v_add_co_u32 v51, vcc_lo, 0x6000, v84
	v_add_co_ci_u32_e32 v52, vcc_lo, 0, v85, vcc_lo
	v_add_co_u32 v0, vcc_lo, v47, s14
	v_add_co_ci_u32_e32 v1, vcc_lo, s15, v48, vcc_lo
	v_cmp_gt_u16_e32 vcc_lo, 18, v2
	global_load_dwordx4 v[122:125], v[49:50], off offset:1120
	global_load_dwordx4 v[47:50], v[47:48], off
	buffer_store_dword v53, off, s[48:51], 0 offset:240 ; 4-byte Folded Spill
	buffer_store_dword v54, off, s[48:51], 0 offset:244 ; 4-byte Folded Spill
	s_waitcnt vmcnt(3)
	v_mul_f64 v[86:87], v[41:42], v[116:117]
	v_mul_f64 v[88:89], v[39:40], v[116:117]
	v_fma_f64 v[39:40], v[39:40], v[114:115], v[86:87]
	s_waitcnt vmcnt(1)
	v_mul_f64 v[90:91], v[45:46], v[124:125]
	global_load_dwordx4 v[126:129], v[53:54], off offset:1232
	buffer_store_dword v51, off, s[48:51], 0 offset:216 ; 4-byte Folded Spill
	buffer_store_dword v52, off, s[48:51], 0 offset:220 ; 4-byte Folded Spill
	v_mul_f64 v[92:93], v[43:44], v[124:125]
	global_load_dwordx4 v[130:133], v[51:52], off offset:1344
	global_load_dwordx4 v[51:54], v[0:1], off
	buffer_store_dword v75, off, s[48:51], 0 offset:272 ; 4-byte Folded Spill
	buffer_store_dword v76, off, s[48:51], 0 offset:276 ; 4-byte Folded Spill
	;; [unrolled: 1-line block ×8, first 2 shown]
	s_waitcnt vmcnt(2)
	v_mul_f64 v[94:95], v[49:50], v[128:129]
	v_mul_f64 v[77:78], v[31:32], v[104:105]
	;; [unrolled: 1-line block ×3, first 2 shown]
	buffer_store_dword v142, off, s[48:51], 0 offset:448 ; 4-byte Folded Spill
	buffer_store_dword v143, off, s[48:51], 0 offset:452 ; 4-byte Folded Spill
	;; [unrolled: 1-line block ×12, first 2 shown]
	v_fma_f64 v[43:44], v[43:44], v[122:123], v[90:91]
	v_mul_f64 v[96:97], v[47:48], v[128:129]
	v_fma_f64 v[47:48], v[47:48], v[126:127], v[94:95]
	v_fma_f64 v[5:6], v[5:6], v[75:76], -v[57:58]
	v_fma_f64 v[9:10], v[9:10], v[79:80], -v[61:62]
	v_mul_f64 v[75:76], v[33:34], v[104:105]
	v_mul_f64 v[79:80], v[37:38], v[120:121]
	s_waitcnt vmcnt(0)
	v_mul_f64 v[98:99], v[53:54], v[132:133]
	v_mul_f64 v[57:58], v[23:24], v[112:113]
	;; [unrolled: 1-line block ×3, first 2 shown]
	v_fma_f64 v[23:24], v[23:24], v[110:111], v[55:56]
	buffer_store_dword v110, off, s[48:51], 0 offset:320 ; 4-byte Folded Spill
	buffer_store_dword v111, off, s[48:51], 0 offset:324 ; 4-byte Folded Spill
	;; [unrolled: 1-line block ×4, first 2 shown]
	v_fma_f64 v[27:28], v[27:28], v[106:107], v[59:60]
	buffer_store_dword v106, off, s[48:51], 0 offset:304 ; 4-byte Folded Spill
	buffer_store_dword v107, off, s[48:51], 0 offset:308 ; 4-byte Folded Spill
	;; [unrolled: 1-line block ×4, first 2 shown]
	v_mul_f64 v[100:101], v[51:52], v[132:133]
	v_fma_f64 v[13:14], v[13:14], v[142:143], -v[65:66]
	v_fma_f64 v[17:18], v[17:18], v[138:139], -v[69:70]
	;; [unrolled: 1-line block ×3, first 2 shown]
	v_fma_f64 v[31:32], v[31:32], v[102:103], v[75:76]
	buffer_store_dword v102, off, s[48:51], 0 offset:288 ; 4-byte Folded Spill
	buffer_store_dword v103, off, s[48:51], 0 offset:292 ; 4-byte Folded Spill
	;; [unrolled: 1-line block ×4, first 2 shown]
	v_fma_f64 v[35:36], v[35:36], v[118:119], v[79:80]
	buffer_store_dword v118, off, s[48:51], 0 offset:352 ; 4-byte Folded Spill
	buffer_store_dword v119, off, s[48:51], 0 offset:356 ; 4-byte Folded Spill
	;; [unrolled: 1-line block ×16, first 2 shown]
	v_fma_f64 v[51:52], v[51:52], v[130:131], v[98:99]
	buffer_store_dword v130, off, s[48:51], 0 offset:400 ; 4-byte Folded Spill
	buffer_store_dword v131, off, s[48:51], 0 offset:404 ; 4-byte Folded Spill
	;; [unrolled: 1-line block ×4, first 2 shown]
	s_load_dwordx2 s[6:7], s[4:5], 0x38
	s_load_dwordx4 s[8:11], s[2:3], 0x0
	v_fma_f64 v[25:26], v[25:26], v[110:111], -v[57:58]
	v_fma_f64 v[29:30], v[29:30], v[106:107], -v[61:62]
	v_fma_f64 v[33:34], v[33:34], v[102:103], -v[77:78]
	v_fma_f64 v[37:38], v[37:38], v[118:119], -v[81:82]
	v_fma_f64 v[41:42], v[41:42], v[114:115], -v[88:89]
	v_fma_f64 v[45:46], v[45:46], v[122:123], -v[92:93]
	v_fma_f64 v[49:50], v[49:50], v[126:127], -v[96:97]
	ds_write_b128 v192, v[3:6]
	ds_write_b128 v192, v[7:10] offset:2160
	ds_write_b128 v192, v[11:14] offset:4320
	;; [unrolled: 1-line block ×8, first 2 shown]
	v_fma_f64 v[53:54], v[53:54], v[130:131], -v[100:101]
	ds_write_b128 v192, v[39:42] offset:19440
	ds_write_b128 v192, v[43:46] offset:21600
	;; [unrolled: 1-line block ×4, first 2 shown]
	s_and_saveexec_b32 s1, vcc_lo
	s_cbranch_execz .LBB0_3
; %bb.2:
	v_mad_u64_u32 v[16:17], null, 0xffffa210, s12, v[0:1]
	global_load_dwordx4 v[0:3], v[84:85], off offset:1872
	s_clause 0x1
	buffer_load_dword v4, off, s[48:51], 0 offset:176
	buffer_load_dword v5, off, s[48:51], 0 offset:180
	s_mul_i32 s0, s13, 0xffffa210
	s_sub_i32 s0, s0, s12
	v_add_nc_u32_e32 v17, s0, v17
	v_add_co_u32 v20, s0, v16, s14
	v_add_co_ci_u32_e64 v21, s0, s15, v17, s0
	v_add_co_u32 v24, s0, v20, s14
	v_add_co_ci_u32_e64 v25, s0, s15, v21, s0
	v_add_co_u32 v28, s0, v24, s14
	v_add_co_ci_u32_e64 v29, s0, s15, v25, s0
	v_add_co_u32 v32, s0, v28, s14
	v_add_co_ci_u32_e64 v33, s0, s15, v29, s0
	v_add_co_u32 v40, s0, v32, s14
	v_add_co_ci_u32_e64 v41, s0, s15, v33, s0
	v_add_co_u32 v48, s0, v40, s14
	v_add_co_ci_u32_e64 v49, s0, s15, v41, s0
	v_add_co_u32 v52, s0, v48, s14
	v_add_co_ci_u32_e64 v53, s0, s15, v49, s0
	v_add_co_u32 v64, s0, v52, s14
	v_add_co_ci_u32_e64 v65, s0, s15, v53, s0
	v_add_co_u32 v68, s0, v64, s14
	v_add_co_ci_u32_e64 v69, s0, s15, v65, s0
	v_add_co_u32 v86, s0, v68, s14
	v_add_co_ci_u32_e64 v87, s0, s15, v69, s0
	v_add_co_u32 v90, s0, v86, s14
	v_add_co_ci_u32_e64 v91, s0, s15, v87, s0
	v_add_co_u32 v98, s0, 0x6800, v84
	v_add_co_ci_u32_e64 v99, s0, 0, v85, s0
	v_add_co_u32 v102, s0, v90, s14
	v_add_co_ci_u32_e64 v103, s0, s15, v91, s0
	s_waitcnt vmcnt(0)
	global_load_dwordx4 v[4:7], v[4:5], off offset:1984
	s_clause 0x1
	buffer_load_dword v8, off, s[48:51], 0 offset:256
	buffer_load_dword v9, off, s[48:51], 0 offset:260
	s_waitcnt vmcnt(0)
	global_load_dwordx4 v[8:11], v[8:9], off offset:48
	s_clause 0x1
	buffer_load_dword v12, off, s[48:51], 0 offset:232
	buffer_load_dword v13, off, s[48:51], 0 offset:236
	global_load_dwordx4 v[16:19], v[16:17], off
	s_waitcnt vmcnt(1)
	global_load_dwordx4 v[12:15], v[12:13], off offset:160
	global_load_dwordx4 v[20:23], v[20:21], off
	global_load_dwordx4 v[24:27], v[24:25], off
	;; [unrolled: 1-line block ×5, first 2 shown]
	s_clause 0x1
	buffer_load_dword v40, off, s[48:51], 0 offset:224
	buffer_load_dword v41, off, s[48:51], 0 offset:228
	s_waitcnt vmcnt(8)
	v_mul_f64 v[106:107], v[18:19], v[2:3]
	v_mul_f64 v[2:3], v[16:17], v[2:3]
	s_waitcnt vmcnt(6)
	v_mul_f64 v[108:109], v[22:23], v[6:7]
	v_mul_f64 v[6:7], v[20:21], v[6:7]
	;; [unrolled: 3-line block ×3, first 2 shown]
	s_waitcnt vmcnt(4)
	v_mul_f64 v[112:113], v[30:31], v[14:15]
	s_waitcnt vmcnt(0)
	global_load_dwordx4 v[40:43], v[40:41], off offset:272
	s_clause 0x1
	buffer_load_dword v44, off, s[48:51], 0 offset:208
	buffer_load_dword v45, off, s[48:51], 0 offset:212
	global_load_dwordx4 v[48:51], v[48:49], off
	global_load_dwordx4 v[52:55], v[52:53], off
	v_mul_f64 v[114:115], v[28:29], v[14:15]
	v_fma_f64 v[14:15], v[16:17], v[0:1], v[106:107]
	v_fma_f64 v[16:17], v[18:19], v[0:1], -v[2:3]
	v_fma_f64 v[0:1], v[20:21], v[4:5], v[108:109]
	v_fma_f64 v[2:3], v[22:23], v[4:5], -v[6:7]
	;; [unrolled: 2-line block ×4, first 2 shown]
	s_waitcnt vmcnt(4)
	v_mul_f64 v[116:117], v[34:35], v[42:43]
	s_waitcnt vmcnt(2)
	global_load_dwordx4 v[44:47], v[44:45], off offset:384
	s_clause 0x1
	buffer_load_dword v56, off, s[48:51], 0 offset:200
	buffer_load_dword v57, off, s[48:51], 0 offset:204
	v_mul_f64 v[42:43], v[32:33], v[42:43]
	v_fma_f64 v[18:19], v[32:33], v[40:41], v[116:117]
	v_fma_f64 v[20:21], v[34:35], v[40:41], -v[42:43]
	s_waitcnt vmcnt(2)
	v_mul_f64 v[106:107], v[38:39], v[46:47]
	s_waitcnt vmcnt(0)
	global_load_dwordx4 v[56:59], v[56:57], off offset:496
	s_clause 0x1
	buffer_load_dword v60, off, s[48:51], 0 offset:192
	buffer_load_dword v61, off, s[48:51], 0 offset:196
	v_mul_f64 v[46:47], v[36:37], v[46:47]
	v_fma_f64 v[22:23], v[36:37], v[44:45], v[106:107]
	v_fma_f64 v[24:25], v[38:39], v[44:45], -v[46:47]
	s_waitcnt vmcnt(2)
	v_mul_f64 v[108:109], v[50:51], v[58:59]
	s_waitcnt vmcnt(0)
	global_load_dwordx4 v[60:63], v[60:61], off offset:608
	global_load_dwordx4 v[64:67], v[64:65], off
	global_load_dwordx4 v[68:71], v[68:69], off
	s_clause 0x1
	buffer_load_dword v72, off, s[48:51], 0 offset:184
	buffer_load_dword v73, off, s[48:51], 0 offset:188
	v_mul_f64 v[58:59], v[48:49], v[58:59]
	v_fma_f64 v[26:27], v[48:49], v[56:57], v[108:109]
	v_fma_f64 v[28:29], v[50:51], v[56:57], -v[58:59]
	s_waitcnt vmcnt(4)
	v_mul_f64 v[118:119], v[54:55], v[62:63]
	v_mul_f64 v[62:63], v[52:53], v[62:63]
	s_waitcnt vmcnt(0)
	global_load_dwordx4 v[72:75], v[72:73], off offset:720
	s_clause 0x1
	buffer_load_dword v76, off, s[48:51], 0 offset:248
	buffer_load_dword v77, off, s[48:51], 0 offset:252
	s_waitcnt vmcnt(0)
	global_load_dwordx4 v[76:79], v[76:77], off offset:832
	global_load_dwordx4 v[80:83], v[86:87], off
	s_clause 0x1
	buffer_load_dword v86, off, s[48:51], 0 offset:240
	buffer_load_dword v87, off, s[48:51], 0 offset:244
	v_mul_f64 v[120:121], v[66:67], v[74:75]
	v_mul_f64 v[74:75], v[64:65], v[74:75]
	v_fma_f64 v[30:31], v[52:53], v[60:61], v[118:119]
	v_fma_f64 v[32:33], v[54:55], v[60:61], -v[62:63]
	s_waitcnt vmcnt(0)
	global_load_dwordx4 v[86:89], v[86:87], off offset:944
	global_load_dwordx4 v[90:93], v[90:91], off
	s_clause 0x1
	buffer_load_dword v94, off, s[48:51], 0 offset:216
	buffer_load_dword v95, off, s[48:51], 0 offset:220
	v_mul_f64 v[122:123], v[70:71], v[78:79]
	v_mul_f64 v[78:79], v[68:69], v[78:79]
	v_fma_f64 v[34:35], v[64:65], v[72:73], v[120:121]
	v_fma_f64 v[36:37], v[66:67], v[72:73], -v[74:75]
	s_waitcnt vmcnt(0)
	s_clause 0x1
	global_load_dwordx4 v[94:97], v[94:95], off offset:1056
	global_load_dwordx4 v[98:101], v[98:99], off offset:1168
	global_load_dwordx4 v[102:105], v[102:103], off
	v_mul_f64 v[124:125], v[82:83], v[88:89]
	v_mul_f64 v[88:89], v[80:81], v[88:89]
	v_fma_f64 v[38:39], v[68:69], v[76:77], v[122:123]
	v_fma_f64 v[40:41], v[70:71], v[76:77], -v[78:79]
	v_fma_f64 v[42:43], v[80:81], v[86:87], v[124:125]
	v_fma_f64 v[44:45], v[82:83], v[86:87], -v[88:89]
	s_waitcnt vmcnt(2)
	v_mul_f64 v[126:127], v[92:93], v[96:97]
	v_mul_f64 v[96:97], v[90:91], v[96:97]
	s_waitcnt vmcnt(0)
	v_mul_f64 v[128:129], v[104:105], v[100:101]
	v_mul_f64 v[100:101], v[102:103], v[100:101]
	v_fma_f64 v[46:47], v[90:91], v[94:95], v[126:127]
	v_fma_f64 v[48:49], v[92:93], v[94:95], -v[96:97]
	v_fma_f64 v[50:51], v[102:103], v[98:99], v[128:129]
	v_fma_f64 v[52:53], v[104:105], v[98:99], -v[100:101]
	ds_write_b128 v192, v[14:17] offset:1872
	ds_write_b128 v192, v[0:3] offset:4032
	;; [unrolled: 1-line block ×13, first 2 shown]
.LBB0_3:
	s_or_b32 exec_lo, exec_lo, s1
	s_waitcnt lgkmcnt(0)
	s_waitcnt_vscnt null, 0x0
	s_barrier
	buffer_gl0_inv
	ds_read_b128 v[8:11], v192
	ds_read_b128 v[16:19], v192 offset:2160
	ds_read_b128 v[20:23], v192 offset:4320
	;; [unrolled: 1-line block ×12, first 2 shown]
	s_load_dwordx2 s[2:3], s[4:5], 0x8
                                        ; implicit-def: $vgpr0_vgpr1
                                        ; implicit-def: $vgpr4_vgpr5
                                        ; implicit-def: $vgpr96_vgpr97
                                        ; implicit-def: $vgpr100_vgpr101
                                        ; implicit-def: $vgpr104_vgpr105
                                        ; implicit-def: $vgpr108_vgpr109
                                        ; implicit-def: $vgpr112_vgpr113
                                        ; implicit-def: $vgpr116_vgpr117
                                        ; implicit-def: $vgpr120_vgpr121
                                        ; implicit-def: $vgpr124_vgpr125
                                        ; implicit-def: $vgpr128_vgpr129
                                        ; implicit-def: $vgpr132_vgpr133
                                        ; implicit-def: $vgpr136_vgpr137
	s_and_saveexec_b32 s0, vcc_lo
	s_cbranch_execz .LBB0_5
; %bb.4:
	ds_read_b128 v[0:3], v192 offset:1872
	ds_read_b128 v[4:7], v192 offset:4032
	;; [unrolled: 1-line block ×13, first 2 shown]
.LBB0_5:
	s_or_b32 exec_lo, exec_lo, s0
	s_waitcnt lgkmcnt(0)
	v_add_f64 v[28:29], v[8:9], v[16:17]
	v_add_f64 v[30:31], v[10:11], v[18:19]
	v_add_f64 v[46:47], v[66:67], -v[74:75]
	v_add_f64 v[42:43], v[64:65], -v[72:73]
	v_add_f64 v[38:39], v[64:65], v[72:73]
	v_add_f64 v[36:37], v[66:67], v[74:75]
	;; [unrolled: 1-line block ×6, first 2 shown]
	s_mov_b32 s44, 0x4267c47c
	s_mov_b32 s26, 0x42a4c3d2
	;; [unrolled: 1-line block ×12, first 2 shown]
	v_add_f64 v[28:29], v[28:29], v[20:21]
	v_add_f64 v[30:31], v[30:31], v[22:23]
	s_mov_b32 s18, 0xe00740e9
	s_mov_b32 s16, 0x1ea71119
	;; [unrolled: 1-line block ×12, first 2 shown]
	v_add_f64 v[32:33], v[76:77], v[80:81]
	v_add_f64 v[34:35], v[78:79], v[82:83]
	s_mov_b32 s37, 0x3fe5384d
	s_mov_b32 s36, s22
	;; [unrolled: 1-line block ×6, first 2 shown]
	v_add_f64 v[28:29], v[28:29], v[24:25]
	v_add_f64 v[30:31], v[30:31], v[26:27]
	s_mov_b32 s43, 0x3fedeba7
	s_mov_b32 s42, s20
	;; [unrolled: 1-line block ×6, first 2 shown]
	v_add_f64 v[182:183], v[106:107], -v[126:127]
	v_add_f64 v[172:173], v[106:107], v[126:127]
	v_add_f64 v[176:177], v[108:109], v[120:121]
	v_add_f64 v[180:181], v[110:111], v[122:123]
	v_add_f64 v[186:187], v[112:113], v[116:117]
	v_add_f64 v[190:191], v[114:115], v[118:119]
	v_add_f64 v[28:29], v[28:29], v[60:61]
	v_add_f64 v[30:31], v[30:31], v[62:63]
	v_add_f64 v[60:61], v[60:61], -v[68:69]
	v_add_f64 v[62:63], v[62:63], -v[70:71]
	v_add_f64 v[28:29], v[28:29], v[64:65]
	v_add_f64 v[30:31], v[30:31], v[66:67]
	v_add_f64 v[64:65], v[24:25], -v[56:57]
	v_add_f64 v[66:67], v[26:27], -v[58:59]
	v_add_f64 v[28:29], v[28:29], v[76:77]
	v_add_f64 v[30:31], v[30:31], v[78:79]
	;; [unrolled: 1-line block ×8, first 2 shown]
	v_add_f64 v[70:71], v[18:19], -v[14:15]
	v_add_f64 v[68:69], v[20:21], -v[52:53]
	v_add_f64 v[18:19], v[18:19], v[14:15]
	v_add_f64 v[86:87], v[28:29], v[56:57]
	;; [unrolled: 1-line block ×5, first 2 shown]
	v_mul_f64 v[26:27], v[70:71], s[44:45]
	v_mul_f64 v[72:73], v[70:71], s[28:29]
	;; [unrolled: 1-line block ×3, first 2 shown]
	v_add_f64 v[30:31], v[78:79], -v[82:83]
	v_add_f64 v[28:29], v[76:77], -v[80:81]
	v_add_f64 v[20:21], v[86:87], v[52:53]
	v_add_f64 v[24:25], v[88:89], v[54:55]
	v_add_f64 v[52:53], v[22:23], -v[54:55]
	v_add_f64 v[22:23], v[16:17], v[12:13]
	v_add_f64 v[16:17], v[16:17], -v[12:13]
	v_mul_f64 v[54:55], v[70:71], s[26:27]
	v_mul_f64 v[154:155], v[30:31], s[24:25]
	v_add_f64 v[140:141], v[20:21], v[12:13]
	v_add_f64 v[142:143], v[24:25], v[14:15]
	v_mul_f64 v[12:13], v[70:71], s[22:23]
	v_mul_f64 v[14:15], v[70:71], s[24:25]
	v_fma_f64 v[20:21], v[22:23], s[18:19], -v[26:27]
	v_fma_f64 v[24:25], v[22:23], s[18:19], v[26:27]
	v_fma_f64 v[26:27], v[22:23], s[16:17], -v[54:55]
	v_fma_f64 v[54:55], v[22:23], s[16:17], v[54:55]
	;; [unrolled: 2-line block ×4, first 2 shown]
	v_mul_f64 v[82:83], v[16:17], s[26:27]
	v_mul_f64 v[86:87], v[16:17], s[28:29]
	v_mul_f64 v[88:89], v[16:17], s[20:21]
	v_mul_f64 v[90:91], v[16:17], s[22:23]
	v_fma_f64 v[78:79], v[22:23], s[4:5], -v[12:13]
	v_fma_f64 v[12:13], v[22:23], s[4:5], v[12:13]
	v_fma_f64 v[80:81], v[22:23], s[0:1], -v[14:15]
	v_fma_f64 v[14:15], v[22:23], s[0:1], v[14:15]
	v_mul_f64 v[22:23], v[16:17], s[44:45]
	v_mul_f64 v[16:17], v[16:17], s[24:25]
	v_add_f64 v[24:25], v[8:9], v[24:25]
	v_add_f64 v[26:27], v[8:9], v[26:27]
	v_add_f64 v[54:55], v[8:9], v[54:55]
	v_add_f64 v[70:71], v[8:9], v[70:71]
	v_fma_f64 v[94:95], v[18:19], s[16:17], v[82:83]
	v_fma_f64 v[82:83], v[18:19], s[16:17], -v[82:83]
	v_fma_f64 v[144:145], v[18:19], s[14:15], v[86:87]
	v_fma_f64 v[86:87], v[18:19], s[14:15], -v[86:87]
	;; [unrolled: 2-line block ×4, first 2 shown]
	v_add_f64 v[72:73], v[8:9], v[72:73]
	v_add_f64 v[76:77], v[8:9], v[76:77]
	;; [unrolled: 1-line block ×7, first 2 shown]
	v_fma_f64 v[92:93], v[18:19], s[18:19], v[22:23]
	v_fma_f64 v[22:23], v[18:19], s[18:19], -v[22:23]
	v_fma_f64 v[150:151], v[18:19], s[0:1], v[16:17]
	v_fma_f64 v[16:17], v[18:19], s[0:1], -v[16:17]
	v_add_f64 v[18:19], v[8:9], v[20:21]
	v_mul_f64 v[8:9], v[52:53], s[26:27]
	v_add_f64 v[82:83], v[10:11], v[82:83]
	v_add_f64 v[86:87], v[10:11], v[86:87]
	;; [unrolled: 1-line block ×6, first 2 shown]
	v_mul_f64 v[146:147], v[60:61], s[20:21]
	v_mul_f64 v[148:149], v[46:47], s[22:23]
	v_add_f64 v[20:21], v[10:11], v[92:93]
	v_add_f64 v[22:23], v[10:11], v[22:23]
	;; [unrolled: 1-line block ×6, first 2 shown]
	v_fma_f64 v[10:11], v[58:59], s[16:17], -v[8:9]
	v_mul_f64 v[16:17], v[68:69], s[26:27]
	v_mul_f64 v[144:145], v[62:63], s[20:21]
	v_fma_f64 v[8:9], v[58:59], s[16:17], v[8:9]
	v_mul_f64 v[150:151], v[42:43], s[22:23]
	v_add_f64 v[10:11], v[10:11], v[18:19]
	v_fma_f64 v[12:13], v[56:57], s[16:17], v[16:17]
	v_mul_f64 v[18:19], v[66:67], s[28:29]
	v_add_f64 v[8:9], v[8:9], v[24:25]
	v_fma_f64 v[16:17], v[56:57], s[16:17], -v[16:17]
	v_mul_f64 v[24:25], v[66:67], s[24:25]
	v_add_f64 v[12:13], v[12:13], v[20:21]
	v_fma_f64 v[14:15], v[50:51], s[14:15], -v[18:19]
	v_mul_f64 v[20:21], v[64:65], s[28:29]
	v_fma_f64 v[18:19], v[50:51], s[14:15], v[18:19]
	v_add_f64 v[16:17], v[16:17], v[22:23]
	v_add_f64 v[10:11], v[14:15], v[10:11]
	v_fma_f64 v[14:15], v[48:49], s[14:15], v[20:21]
	v_add_f64 v[8:9], v[18:19], v[8:9]
	v_fma_f64 v[18:19], v[48:49], s[14:15], -v[20:21]
	v_mul_f64 v[20:21], v[68:69], s[20:21]
	v_add_f64 v[12:13], v[14:15], v[12:13]
	v_fma_f64 v[14:15], v[44:45], s[12:13], -v[144:145]
	v_add_f64 v[16:17], v[18:19], v[16:17]
	v_fma_f64 v[18:19], v[44:45], s[12:13], v[144:145]
	v_fma_f64 v[22:23], v[56:57], s[12:13], v[20:21]
	v_fma_f64 v[20:21], v[56:57], s[12:13], -v[20:21]
	v_add_f64 v[10:11], v[14:15], v[10:11]
	v_fma_f64 v[14:15], v[40:41], s[12:13], v[146:147]
	v_add_f64 v[8:9], v[18:19], v[8:9]
	v_fma_f64 v[18:19], v[40:41], s[12:13], -v[146:147]
	v_add_f64 v[22:23], v[22:23], v[92:93]
	v_add_f64 v[20:21], v[20:21], v[82:83]
	v_mul_f64 v[82:83], v[60:61], s[34:35]
	v_add_f64 v[12:13], v[14:15], v[12:13]
	v_fma_f64 v[14:15], v[38:39], s[4:5], -v[148:149]
	v_add_f64 v[16:17], v[18:19], v[16:17]
	v_fma_f64 v[18:19], v[38:39], s[4:5], v[148:149]
	v_add_f64 v[10:11], v[14:15], v[10:11]
	v_fma_f64 v[14:15], v[36:37], s[4:5], v[150:151]
	v_add_f64 v[8:9], v[18:19], v[8:9]
	v_fma_f64 v[18:19], v[36:37], s[4:5], -v[150:151]
	v_add_f64 v[14:15], v[14:15], v[12:13]
	v_fma_f64 v[12:13], v[32:33], s[0:1], -v[154:155]
	v_add_f64 v[16:17], v[18:19], v[16:17]
	v_fma_f64 v[18:19], v[32:33], s[0:1], v[154:155]
	v_mul_f64 v[154:155], v[42:43], s[30:31]
	v_add_f64 v[12:13], v[12:13], v[10:11]
	v_mul_f64 v[10:11], v[28:29], s[24:25]
	v_add_f64 v[8:9], v[18:19], v[8:9]
	v_fma_f64 v[158:159], v[34:35], s[0:1], v[10:11]
	v_fma_f64 v[10:11], v[34:35], s[0:1], -v[10:11]
	v_add_f64 v[14:15], v[158:159], v[14:15]
	v_add_f64 v[10:11], v[10:11], v[16:17]
	v_mul_f64 v[16:17], v[52:53], s[20:21]
	v_mul_f64 v[158:159], v[30:31], s[34:35]
	v_fma_f64 v[18:19], v[58:59], s[12:13], -v[16:17]
	v_fma_f64 v[16:17], v[58:59], s[12:13], v[16:17]
	v_add_f64 v[18:19], v[18:19], v[26:27]
	v_fma_f64 v[26:27], v[50:51], s[0:1], -v[24:25]
	v_add_f64 v[16:17], v[16:17], v[54:55]
	v_mul_f64 v[54:55], v[64:65], s[42:43]
	v_add_f64 v[18:19], v[26:27], v[18:19]
	v_mul_f64 v[26:27], v[64:65], s[24:25]
	v_fma_f64 v[92:93], v[48:49], s[0:1], v[26:27]
	v_add_f64 v[22:23], v[92:93], v[22:23]
	v_mul_f64 v[92:93], v[62:63], s[36:37]
	v_fma_f64 v[144:145], v[44:45], s[4:5], -v[92:93]
	v_add_f64 v[18:19], v[144:145], v[18:19]
	v_mul_f64 v[144:145], v[60:61], s[36:37]
	v_fma_f64 v[146:147], v[40:41], s[4:5], v[144:145]
	v_add_f64 v[22:23], v[146:147], v[22:23]
	v_mul_f64 v[146:147], v[46:47], s[30:31]
	v_fma_f64 v[148:149], v[38:39], s[14:15], -v[146:147]
	v_add_f64 v[18:19], v[148:149], v[18:19]
	v_fma_f64 v[148:149], v[36:37], s[14:15], v[154:155]
	v_add_f64 v[22:23], v[148:149], v[22:23]
	v_fma_f64 v[148:149], v[32:33], s[18:19], -v[158:159]
	v_add_f64 v[148:149], v[148:149], v[18:19]
	v_mul_f64 v[18:19], v[28:29], s[34:35]
	v_fma_f64 v[150:151], v[34:35], s[18:19], v[18:19]
	v_fma_f64 v[18:19], v[34:35], s[18:19], -v[18:19]
	v_add_f64 v[150:151], v[150:151], v[22:23]
	v_fma_f64 v[22:23], v[50:51], s[0:1], v[24:25]
	v_mul_f64 v[24:25], v[68:69], s[24:25]
	v_add_f64 v[16:17], v[22:23], v[16:17]
	v_fma_f64 v[22:23], v[48:49], s[0:1], -v[26:27]
	v_mul_f64 v[26:27], v[66:67], s[42:43]
	v_add_f64 v[20:21], v[22:23], v[20:21]
	v_fma_f64 v[22:23], v[44:45], s[4:5], v[92:93]
	v_mul_f64 v[92:93], v[46:47], s[26:27]
	v_add_f64 v[16:17], v[22:23], v[16:17]
	v_fma_f64 v[22:23], v[40:41], s[4:5], -v[144:145]
	v_add_f64 v[20:21], v[22:23], v[20:21]
	v_fma_f64 v[22:23], v[38:39], s[14:15], v[146:147]
	v_add_f64 v[16:17], v[22:23], v[16:17]
	v_fma_f64 v[22:23], v[36:37], s[14:15], -v[154:155]
	v_mul_f64 v[154:155], v[30:31], s[22:23]
	v_add_f64 v[20:21], v[22:23], v[20:21]
	v_fma_f64 v[22:23], v[32:33], s[18:19], v[158:159]
	v_add_f64 v[146:147], v[18:19], v[20:21]
	v_add_f64 v[144:145], v[22:23], v[16:17]
	v_mul_f64 v[16:17], v[52:53], s[24:25]
	v_fma_f64 v[20:21], v[56:57], s[0:1], v[24:25]
	v_fma_f64 v[22:23], v[50:51], s[12:13], -v[26:27]
	v_fma_f64 v[24:25], v[56:57], s[0:1], -v[24:25]
	v_fma_f64 v[26:27], v[50:51], s[12:13], v[26:27]
	v_fma_f64 v[18:19], v[58:59], s[0:1], -v[16:17]
	v_add_f64 v[20:21], v[20:21], v[94:95]
	v_fma_f64 v[16:17], v[58:59], s[0:1], v[16:17]
	v_add_f64 v[24:25], v[24:25], v[86:87]
	v_mul_f64 v[94:95], v[42:43], s[26:27]
	v_add_f64 v[18:19], v[18:19], v[70:71]
	v_mul_f64 v[70:71], v[62:63], s[34:35]
	;; [unrolled: 2-line block ×3, first 2 shown]
	v_add_f64 v[18:19], v[22:23], v[18:19]
	v_fma_f64 v[22:23], v[48:49], s[12:13], v[54:55]
	v_add_f64 v[16:17], v[26:27], v[16:17]
	v_fma_f64 v[26:27], v[48:49], s[12:13], -v[54:55]
	v_mul_f64 v[54:55], v[52:53], s[36:37]
	v_add_f64 v[20:21], v[22:23], v[20:21]
	v_fma_f64 v[22:23], v[44:45], s[18:19], -v[70:71]
	v_add_f64 v[24:25], v[26:27], v[24:25]
	v_fma_f64 v[26:27], v[44:45], s[18:19], v[70:71]
	v_mul_f64 v[70:71], v[68:69], s[36:37]
	v_add_f64 v[18:19], v[22:23], v[18:19]
	v_fma_f64 v[22:23], v[40:41], s[18:19], v[82:83]
	v_add_f64 v[16:17], v[26:27], v[16:17]
	v_fma_f64 v[26:27], v[40:41], s[18:19], -v[82:83]
	v_add_f64 v[20:21], v[22:23], v[20:21]
	v_fma_f64 v[22:23], v[38:39], s[16:17], -v[92:93]
	v_add_f64 v[24:25], v[26:27], v[24:25]
	v_fma_f64 v[26:27], v[38:39], s[16:17], v[92:93]
	v_add_f64 v[18:19], v[22:23], v[18:19]
	v_fma_f64 v[22:23], v[36:37], s[16:17], v[94:95]
	v_add_f64 v[16:17], v[26:27], v[16:17]
	v_fma_f64 v[26:27], v[36:37], s[16:17], -v[94:95]
	v_add_f64 v[22:23], v[22:23], v[20:21]
	v_fma_f64 v[20:21], v[32:33], s[4:5], -v[154:155]
	v_add_f64 v[24:25], v[26:27], v[24:25]
	v_fma_f64 v[26:27], v[32:33], s[4:5], v[154:155]
	v_add_f64 v[20:21], v[20:21], v[18:19]
	v_mul_f64 v[18:19], v[28:29], s[22:23]
	v_add_f64 v[16:17], v[26:27], v[16:17]
	v_fma_f64 v[26:27], v[56:57], s[4:5], v[70:71]
	v_fma_f64 v[70:71], v[56:57], s[4:5], -v[70:71]
	v_fma_f64 v[158:159], v[34:35], s[4:5], v[18:19]
	v_fma_f64 v[18:19], v[34:35], s[4:5], -v[18:19]
	v_add_f64 v[26:27], v[26:27], v[152:153]
	v_add_f64 v[70:71], v[70:71], v[88:89]
	;; [unrolled: 1-line block ×4, first 2 shown]
	v_fma_f64 v[24:25], v[58:59], s[4:5], -v[54:55]
	v_fma_f64 v[54:55], v[58:59], s[4:5], v[54:55]
	v_add_f64 v[24:25], v[24:25], v[76:77]
	v_fma_f64 v[76:77], v[50:51], s[18:19], -v[72:73]
	v_add_f64 v[54:55], v[54:55], v[74:75]
	v_fma_f64 v[72:73], v[50:51], s[18:19], v[72:73]
	v_add_f64 v[24:25], v[76:77], v[24:25]
	v_mul_f64 v[76:77], v[64:65], s[34:35]
	v_add_f64 v[54:55], v[72:73], v[54:55]
	v_fma_f64 v[82:83], v[48:49], s[18:19], v[76:77]
	v_fma_f64 v[72:73], v[48:49], s[18:19], -v[76:77]
	v_mul_f64 v[76:77], v[66:67], s[26:27]
	v_mul_f64 v[66:67], v[66:67], s[22:23]
	v_add_f64 v[26:27], v[82:83], v[26:27]
	v_mul_f64 v[82:83], v[62:63], s[28:29]
	v_add_f64 v[70:71], v[72:73], v[70:71]
	v_fma_f64 v[86:87], v[44:45], s[14:15], -v[82:83]
	v_fma_f64 v[72:73], v[44:45], s[14:15], v[82:83]
	v_add_f64 v[24:25], v[86:87], v[24:25]
	v_mul_f64 v[86:87], v[60:61], s[28:29]
	v_add_f64 v[54:55], v[72:73], v[54:55]
	v_fma_f64 v[92:93], v[40:41], s[14:15], v[86:87]
	v_fma_f64 v[72:73], v[40:41], s[14:15], -v[86:87]
	v_add_f64 v[26:27], v[92:93], v[26:27]
	v_mul_f64 v[92:93], v[46:47], s[40:41]
	v_add_f64 v[70:71], v[72:73], v[70:71]
	v_fma_f64 v[94:95], v[38:39], s[0:1], -v[92:93]
	v_fma_f64 v[72:73], v[38:39], s[0:1], v[92:93]
	v_add_f64 v[24:25], v[94:95], v[24:25]
	v_mul_f64 v[94:95], v[42:43], s[40:41]
	v_add_f64 v[54:55], v[72:73], v[54:55]
	v_fma_f64 v[152:153], v[36:37], s[0:1], v[94:95]
	v_fma_f64 v[72:73], v[36:37], s[0:1], -v[94:95]
	v_add_f64 v[26:27], v[152:153], v[26:27]
	v_mul_f64 v[152:153], v[30:31], s[38:39]
	v_add_f64 v[70:71], v[72:73], v[70:71]
	v_fma_f64 v[154:155], v[32:33], s[16:17], -v[152:153]
	v_fma_f64 v[72:73], v[32:33], s[16:17], v[152:153]
	v_add_f64 v[24:25], v[154:155], v[24:25]
	v_mul_f64 v[154:155], v[28:29], s[38:39]
	v_add_f64 v[152:153], v[72:73], v[54:55]
	v_mul_f64 v[54:55], v[52:53], s[30:31]
	v_mul_f64 v[72:73], v[68:69], s[30:31]
	;; [unrolled: 1-line block ×4, first 2 shown]
	v_fma_f64 v[74:75], v[34:35], s[16:17], -v[154:155]
	v_fma_f64 v[158:159], v[34:35], s[16:17], v[154:155]
	v_add_f64 v[154:155], v[74:75], v[70:71]
	v_fma_f64 v[70:71], v[58:59], s[14:15], -v[54:55]
	v_fma_f64 v[74:75], v[56:57], s[14:15], v[72:73]
	v_add_f64 v[26:27], v[158:159], v[26:27]
	v_fma_f64 v[54:55], v[58:59], s[14:15], v[54:55]
	v_fma_f64 v[72:73], v[56:57], s[14:15], -v[72:73]
	v_add_f64 v[70:71], v[70:71], v[78:79]
	v_fma_f64 v[78:79], v[50:51], s[16:17], -v[76:77]
	v_add_f64 v[74:75], v[74:75], v[156:157]
	v_add_f64 v[54:55], v[54:55], v[160:161]
	;; [unrolled: 1-line block ×3, first 2 shown]
	v_add_f64 v[90:91], v[96:97], -v[132:133]
	v_add_f64 v[70:71], v[78:79], v[70:71]
	v_mul_f64 v[78:79], v[64:65], s[26:27]
	v_mul_f64 v[64:65], v[64:65], s[22:23]
	v_fma_f64 v[82:83], v[48:49], s[16:17], v[78:79]
	v_add_f64 v[74:75], v[82:83], v[74:75]
	v_mul_f64 v[82:83], v[62:63], s[40:41]
	v_mul_f64 v[62:63], v[62:63], s[38:39]
	v_fma_f64 v[86:87], v[44:45], s[0:1], -v[82:83]
	v_add_f64 v[70:71], v[86:87], v[70:71]
	v_mul_f64 v[86:87], v[60:61], s[40:41]
	v_fma_f64 v[88:89], v[40:41], s[0:1], v[86:87]
	v_add_f64 v[74:75], v[88:89], v[74:75]
	v_mul_f64 v[88:89], v[46:47], s[34:35]
	v_mul_f64 v[46:47], v[46:47], s[20:21]
	v_fma_f64 v[92:93], v[38:39], s[18:19], -v[88:89]
	v_add_f64 v[70:71], v[92:93], v[70:71]
	v_mul_f64 v[92:93], v[42:43], s[34:35]
	v_mul_f64 v[42:43], v[42:43], s[20:21]
	v_fma_f64 v[94:95], v[36:37], s[18:19], v[92:93]
	v_add_f64 v[74:75], v[94:95], v[74:75]
	v_mul_f64 v[94:95], v[30:31], s[20:21]
	v_fma_f64 v[156:157], v[32:33], s[12:13], -v[94:95]
	v_add_f64 v[156:157], v[156:157], v[70:71]
	v_mul_f64 v[70:71], v[28:29], s[20:21]
	v_fma_f64 v[158:159], v[34:35], s[12:13], v[70:71]
	v_fma_f64 v[70:71], v[34:35], s[12:13], -v[70:71]
	v_add_f64 v[158:159], v[158:159], v[74:75]
	v_fma_f64 v[74:75], v[50:51], s[16:17], v[76:77]
	v_add_f64 v[54:55], v[74:75], v[54:55]
	v_fma_f64 v[74:75], v[48:49], s[16:17], -v[78:79]
	v_add_f64 v[72:73], v[74:75], v[72:73]
	v_fma_f64 v[74:75], v[44:45], s[0:1], v[82:83]
	v_add_f64 v[54:55], v[74:75], v[54:55]
	v_fma_f64 v[74:75], v[40:41], s[0:1], -v[86:87]
	v_add_f64 v[72:73], v[74:75], v[72:73]
	v_fma_f64 v[74:75], v[38:39], s[18:19], v[88:89]
	v_add_f64 v[88:89], v[4:5], -v[136:137]
	v_add_f64 v[54:55], v[74:75], v[54:55]
	v_fma_f64 v[74:75], v[36:37], s[18:19], -v[92:93]
	v_add_f64 v[92:93], v[102:103], -v[130:131]
	v_add_f64 v[72:73], v[74:75], v[72:73]
	v_fma_f64 v[74:75], v[32:33], s[12:13], v[94:95]
	v_add_f64 v[94:95], v[100:101], -v[128:129]
	v_add_f64 v[162:163], v[70:71], v[72:73]
	v_add_f64 v[160:161], v[74:75], v[54:55]
	v_fma_f64 v[54:55], v[58:59], s[18:19], -v[52:53]
	v_fma_f64 v[70:71], v[56:57], s[18:19], v[68:69]
	v_fma_f64 v[72:73], v[50:51], s[4:5], -v[66:67]
	v_fma_f64 v[52:53], v[58:59], s[18:19], v[52:53]
	v_mul_f64 v[58:59], v[60:61], s[38:39]
	v_fma_f64 v[56:57], v[56:57], s[18:19], -v[68:69]
	v_fma_f64 v[50:51], v[50:51], s[4:5], v[66:67]
	v_fma_f64 v[66:67], v[38:39], s[12:13], -v[46:47]
	v_fma_f64 v[46:47], v[38:39], s[12:13], v[46:47]
	v_add_f64 v[38:39], v[4:5], v[136:137]
	v_mul_f64 v[86:87], v[94:95], s[28:29]
	v_add_f64 v[54:55], v[54:55], v[80:81]
	v_add_f64 v[70:71], v[70:71], v[164:165]
	;; [unrolled: 1-line block ×4, first 2 shown]
	v_fma_f64 v[60:61], v[40:41], s[16:17], v[58:59]
	v_add_f64 v[56:57], v[56:57], v[168:169]
	v_fma_f64 v[40:41], v[40:41], s[16:17], -v[58:59]
	v_add_f64 v[58:59], v[98:99], -v[134:135]
	v_add_f64 v[168:169], v[104:105], v[124:125]
	v_mul_f64 v[166:167], v[182:183], s[20:21]
	v_mul_f64 v[80:81], v[90:91], s[20:21]
	v_add_f64 v[54:55], v[72:73], v[54:55]
	v_fma_f64 v[72:73], v[48:49], s[4:5], v[64:65]
	v_fma_f64 v[48:49], v[48:49], s[4:5], -v[64:65]
	v_add_f64 v[50:51], v[50:51], v[52:53]
	v_fma_f64 v[52:53], v[36:37], s[12:13], v[42:43]
	v_fma_f64 v[42:43], v[36:37], s[12:13], -v[42:43]
	v_add_f64 v[70:71], v[72:73], v[70:71]
	v_fma_f64 v[72:73], v[44:45], s[16:17], -v[62:63]
	v_fma_f64 v[44:45], v[44:45], s[16:17], v[62:63]
	v_add_f64 v[48:49], v[48:49], v[56:57]
	v_add_f64 v[56:57], v[6:7], -v[138:139]
	v_add_f64 v[60:61], v[60:61], v[70:71]
	v_add_f64 v[54:55], v[72:73], v[54:55]
	;; [unrolled: 1-line block ×3, first 2 shown]
	v_mul_f64 v[50:51], v[30:31], s[30:31]
	v_add_f64 v[40:41], v[40:41], v[48:49]
	v_mul_f64 v[36:37], v[56:57], s[44:45]
	v_add_f64 v[52:53], v[52:53], v[60:61]
	;; [unrolled: 2-line block ×3, first 2 shown]
	v_fma_f64 v[28:29], v[32:33], s[14:15], -v[50:51]
	v_add_f64 v[46:47], v[42:43], v[40:41]
	v_fma_f64 v[32:33], v[32:33], s[14:15], v[50:51]
	v_fma_f64 v[48:49], v[38:39], s[18:19], v[36:37]
	v_add_f64 v[42:43], v[96:97], v[132:133]
	v_mul_f64 v[40:41], v[58:59], s[26:27]
	v_add_f64 v[54:55], v[66:67], v[54:55]
	v_add_f64 v[50:51], v[98:99], v[134:135]
	v_fma_f64 v[30:31], v[34:35], s[14:15], v[60:61]
	v_fma_f64 v[34:35], v[34:35], s[14:15], -v[60:61]
	v_add_f64 v[32:33], v[32:33], v[44:45]
	v_add_f64 v[44:45], v[0:1], v[48:49]
	;; [unrolled: 1-line block ×4, first 2 shown]
	v_fma_f64 v[82:83], v[50:51], s[12:13], v[80:81]
	v_add_f64 v[30:31], v[30:31], v[52:53]
	v_add_f64 v[34:35], v[34:35], v[46:47]
	v_fma_f64 v[46:47], v[42:43], s[16:17], v[40:41]
	v_add_f64 v[60:61], v[46:47], v[44:45]
	v_mul_f64 v[46:47], v[88:89], s[44:45]
	v_fma_f64 v[44:45], v[48:49], s[18:19], -v[46:47]
	v_add_f64 v[52:53], v[2:3], v[44:45]
	v_mul_f64 v[44:45], v[90:91], s[26:27]
	v_fma_f64 v[54:55], v[50:51], s[16:17], -v[44:45]
	v_add_f64 v[62:63], v[54:55], v[52:53]
	v_add_f64 v[54:55], v[100:101], v[128:129]
	v_mul_f64 v[52:53], v[92:93], s[28:29]
	v_fma_f64 v[64:65], v[54:55], s[14:15], v[52:53]
	v_add_f64 v[60:61], v[64:65], v[60:61]
	v_fma_f64 v[64:65], v[164:165], s[14:15], -v[86:87]
	v_add_f64 v[62:63], v[64:65], v[62:63]
	v_fma_f64 v[64:65], v[168:169], s[12:13], v[166:167]
	v_add_f64 v[60:61], v[64:65], v[60:61]
	v_add_f64 v[64:65], v[104:105], -v[124:125]
	v_mul_f64 v[170:171], v[64:65], s[20:21]
	v_fma_f64 v[66:67], v[172:173], s[12:13], -v[170:171]
	v_add_f64 v[62:63], v[66:67], v[62:63]
	v_add_f64 v[66:67], v[110:111], -v[122:123]
	v_mul_f64 v[174:175], v[66:67], s[22:23]
	v_fma_f64 v[68:69], v[176:177], s[4:5], v[174:175]
	v_add_f64 v[60:61], v[68:69], v[60:61]
	v_add_f64 v[68:69], v[108:109], -v[120:121]
	v_mul_f64 v[178:179], v[68:69], s[22:23]
	v_fma_f64 v[70:71], v[180:181], s[4:5], -v[178:179]
	v_add_f64 v[62:63], v[70:71], v[62:63]
	v_add_f64 v[70:71], v[114:115], -v[118:119]
	v_mul_f64 v[184:185], v[70:71], s[24:25]
	v_fma_f64 v[72:73], v[186:187], s[0:1], v[184:185]
	v_add_f64 v[74:75], v[72:73], v[60:61]
	v_add_f64 v[60:61], v[112:113], -v[116:117]
	v_mul_f64 v[188:189], v[60:61], s[24:25]
	v_fma_f64 v[72:73], v[190:191], s[0:1], -v[188:189]
	v_add_f64 v[76:77], v[72:73], v[62:63]
	v_mul_f64 v[62:63], v[56:57], s[26:27]
	buffer_store_dword v74, off, s[48:51], 0 ; 4-byte Folded Spill
	buffer_store_dword v75, off, s[48:51], 0 offset:4 ; 4-byte Folded Spill
	buffer_store_dword v76, off, s[48:51], 0 offset:8 ; 4-byte Folded Spill
	;; [unrolled: 1-line block ×3, first 2 shown]
	v_fma_f64 v[72:73], v[38:39], s[16:17], -v[62:63]
	v_mul_f64 v[74:75], v[58:59], s[20:21]
	v_fma_f64 v[62:63], v[38:39], s[16:17], v[62:63]
	v_add_f64 v[72:73], v[0:1], v[72:73]
	v_fma_f64 v[76:77], v[42:43], s[12:13], -v[74:75]
	v_add_f64 v[62:63], v[0:1], v[62:63]
	v_fma_f64 v[74:75], v[42:43], s[12:13], v[74:75]
	v_add_f64 v[72:73], v[76:77], v[72:73]
	v_mul_f64 v[76:77], v[88:89], s[26:27]
	v_add_f64 v[62:63], v[74:75], v[62:63]
	v_fma_f64 v[78:79], v[48:49], s[16:17], v[76:77]
	v_fma_f64 v[74:75], v[48:49], s[16:17], -v[76:77]
	v_fma_f64 v[76:77], v[50:51], s[12:13], -v[80:81]
	v_mul_f64 v[80:81], v[90:91], s[24:25]
	v_add_f64 v[78:79], v[2:3], v[78:79]
	v_add_f64 v[74:75], v[2:3], v[74:75]
	;; [unrolled: 1-line block ×3, first 2 shown]
	v_mul_f64 v[82:83], v[92:93], s[24:25]
	v_add_f64 v[74:75], v[76:77], v[74:75]
	v_fma_f64 v[194:195], v[54:55], s[0:1], -v[82:83]
	v_fma_f64 v[76:77], v[54:55], s[0:1], v[82:83]
	v_fma_f64 v[82:83], v[50:51], s[0:1], v[80:81]
	v_add_f64 v[72:73], v[194:195], v[72:73]
	v_mul_f64 v[194:195], v[94:95], s[24:25]
	v_add_f64 v[62:63], v[76:77], v[62:63]
	v_fma_f64 v[196:197], v[164:165], s[0:1], v[194:195]
	v_fma_f64 v[76:77], v[164:165], s[0:1], -v[194:195]
	v_add_f64 v[78:79], v[196:197], v[78:79]
	v_mul_f64 v[196:197], v[182:183], s[36:37]
	v_add_f64 v[74:75], v[76:77], v[74:75]
	v_fma_f64 v[198:199], v[168:169], s[4:5], -v[196:197]
	v_fma_f64 v[76:77], v[168:169], s[4:5], v[196:197]
	v_add_f64 v[72:73], v[198:199], v[72:73]
	v_mul_f64 v[198:199], v[64:65], s[36:37]
	v_add_f64 v[62:63], v[76:77], v[62:63]
	v_fma_f64 v[200:201], v[172:173], s[4:5], v[198:199]
	v_fma_f64 v[76:77], v[172:173], s[4:5], -v[198:199]
	v_add_f64 v[78:79], v[200:201], v[78:79]
	v_mul_f64 v[200:201], v[66:67], s[30:31]
	v_add_f64 v[74:75], v[76:77], v[74:75]
	v_fma_f64 v[202:203], v[176:177], s[14:15], -v[200:201]
	v_fma_f64 v[76:77], v[176:177], s[14:15], v[200:201]
	v_add_f64 v[72:73], v[202:203], v[72:73]
	v_mul_f64 v[202:203], v[68:69], s[30:31]
	v_add_f64 v[62:63], v[76:77], v[62:63]
	v_fma_f64 v[204:205], v[180:181], s[14:15], v[202:203]
	v_fma_f64 v[76:77], v[180:181], s[14:15], -v[202:203]
	v_add_f64 v[78:79], v[204:205], v[78:79]
	v_mul_f64 v[204:205], v[70:71], s[34:35]
	v_add_f64 v[74:75], v[76:77], v[74:75]
	v_fma_f64 v[206:207], v[186:187], s[18:19], -v[204:205]
	v_fma_f64 v[76:77], v[186:187], s[18:19], v[204:205]
	v_add_f64 v[208:209], v[206:207], v[72:73]
	v_mul_f64 v[72:73], v[60:61], s[34:35]
	v_add_f64 v[76:77], v[76:77], v[62:63]
	v_mul_f64 v[62:63], v[56:57], s[28:29]
	v_fma_f64 v[206:207], v[190:191], s[18:19], v[72:73]
	v_fma_f64 v[72:73], v[190:191], s[18:19], -v[72:73]
	v_add_f64 v[210:211], v[206:207], v[78:79]
	v_add_f64 v[78:79], v[72:73], v[74:75]
	v_fma_f64 v[72:73], v[38:39], s[14:15], -v[62:63]
	v_mul_f64 v[74:75], v[58:59], s[24:25]
	buffer_store_dword v208, off, s[48:51], 0 offset:128 ; 4-byte Folded Spill
	buffer_store_dword v209, off, s[48:51], 0 offset:132 ; 4-byte Folded Spill
	;; [unrolled: 1-line block ×8, first 2 shown]
	v_add_f64 v[72:73], v[0:1], v[72:73]
	v_fma_f64 v[76:77], v[42:43], s[0:1], -v[74:75]
	v_fma_f64 v[62:63], v[38:39], s[14:15], v[62:63]
	v_fma_f64 v[74:75], v[42:43], s[0:1], v[74:75]
	v_add_f64 v[72:73], v[76:77], v[72:73]
	v_mul_f64 v[76:77], v[88:89], s[28:29]
	v_add_f64 v[62:63], v[0:1], v[62:63]
	v_fma_f64 v[78:79], v[48:49], s[14:15], v[76:77]
	v_add_f64 v[62:63], v[74:75], v[62:63]
	v_fma_f64 v[74:75], v[48:49], s[14:15], -v[76:77]
	v_fma_f64 v[76:77], v[50:51], s[0:1], -v[80:81]
	v_mul_f64 v[80:81], v[90:91], s[36:37]
	v_add_f64 v[78:79], v[2:3], v[78:79]
	v_add_f64 v[74:75], v[2:3], v[74:75]
	;; [unrolled: 1-line block ×3, first 2 shown]
	v_mul_f64 v[82:83], v[92:93], s[42:43]
	v_add_f64 v[74:75], v[76:77], v[74:75]
	v_fma_f64 v[194:195], v[54:55], s[12:13], -v[82:83]
	v_fma_f64 v[76:77], v[54:55], s[12:13], v[82:83]
	v_fma_f64 v[82:83], v[50:51], s[4:5], v[80:81]
	v_add_f64 v[72:73], v[194:195], v[72:73]
	v_mul_f64 v[194:195], v[94:95], s[42:43]
	v_add_f64 v[62:63], v[76:77], v[62:63]
	v_fma_f64 v[196:197], v[164:165], s[12:13], v[194:195]
	v_fma_f64 v[76:77], v[164:165], s[12:13], -v[194:195]
	v_add_f64 v[78:79], v[196:197], v[78:79]
	v_mul_f64 v[196:197], v[182:183], s[34:35]
	v_add_f64 v[74:75], v[76:77], v[74:75]
	v_fma_f64 v[198:199], v[168:169], s[18:19], -v[196:197]
	v_fma_f64 v[76:77], v[168:169], s[18:19], v[196:197]
	v_add_f64 v[72:73], v[198:199], v[72:73]
	v_mul_f64 v[198:199], v[64:65], s[34:35]
	v_add_f64 v[62:63], v[76:77], v[62:63]
	v_fma_f64 v[200:201], v[172:173], s[18:19], v[198:199]
	v_fma_f64 v[76:77], v[172:173], s[18:19], -v[198:199]
	v_add_f64 v[78:79], v[200:201], v[78:79]
	v_mul_f64 v[200:201], v[66:67], s[26:27]
	v_add_f64 v[74:75], v[76:77], v[74:75]
	v_fma_f64 v[202:203], v[176:177], s[16:17], -v[200:201]
	;; [unrolled: 10-line block ×3, first 2 shown]
	v_fma_f64 v[76:77], v[186:187], s[4:5], v[204:205]
	v_add_f64 v[208:209], v[206:207], v[72:73]
	v_mul_f64 v[72:73], v[60:61], s[22:23]
	v_add_f64 v[76:77], v[76:77], v[62:63]
	v_mul_f64 v[62:63], v[56:57], s[20:21]
	v_fma_f64 v[206:207], v[190:191], s[4:5], v[72:73]
	v_fma_f64 v[72:73], v[190:191], s[4:5], -v[72:73]
	v_add_f64 v[210:211], v[206:207], v[78:79]
	v_add_f64 v[78:79], v[72:73], v[74:75]
	v_fma_f64 v[72:73], v[38:39], s[12:13], -v[62:63]
	v_mul_f64 v[74:75], v[58:59], s[36:37]
	buffer_store_dword v208, off, s[48:51], 0 offset:80 ; 4-byte Folded Spill
	buffer_store_dword v209, off, s[48:51], 0 offset:84 ; 4-byte Folded Spill
	;; [unrolled: 1-line block ×8, first 2 shown]
	v_add_f64 v[72:73], v[0:1], v[72:73]
	v_fma_f64 v[76:77], v[42:43], s[4:5], -v[74:75]
	v_fma_f64 v[62:63], v[38:39], s[12:13], v[62:63]
	v_fma_f64 v[74:75], v[42:43], s[4:5], v[74:75]
	v_add_f64 v[72:73], v[76:77], v[72:73]
	v_mul_f64 v[76:77], v[88:89], s[20:21]
	v_add_f64 v[62:63], v[0:1], v[62:63]
	v_fma_f64 v[78:79], v[48:49], s[12:13], v[76:77]
	v_add_f64 v[62:63], v[74:75], v[62:63]
	v_fma_f64 v[74:75], v[48:49], s[12:13], -v[76:77]
	v_fma_f64 v[76:77], v[50:51], s[4:5], -v[80:81]
	v_mul_f64 v[80:81], v[90:91], s[30:31]
	v_add_f64 v[78:79], v[2:3], v[78:79]
	v_add_f64 v[74:75], v[2:3], v[74:75]
	;; [unrolled: 1-line block ×3, first 2 shown]
	v_mul_f64 v[82:83], v[92:93], s[34:35]
	v_add_f64 v[74:75], v[76:77], v[74:75]
	v_fma_f64 v[194:195], v[54:55], s[18:19], -v[82:83]
	v_fma_f64 v[76:77], v[54:55], s[18:19], v[82:83]
	v_fma_f64 v[82:83], v[50:51], s[14:15], v[80:81]
	v_add_f64 v[72:73], v[194:195], v[72:73]
	v_mul_f64 v[194:195], v[94:95], s[34:35]
	v_add_f64 v[62:63], v[76:77], v[62:63]
	v_fma_f64 v[196:197], v[164:165], s[18:19], v[194:195]
	v_fma_f64 v[76:77], v[164:165], s[18:19], -v[194:195]
	v_add_f64 v[78:79], v[196:197], v[78:79]
	v_mul_f64 v[196:197], v[182:183], s[28:29]
	v_add_f64 v[74:75], v[76:77], v[74:75]
	v_fma_f64 v[198:199], v[168:169], s[14:15], -v[196:197]
	v_fma_f64 v[76:77], v[168:169], s[14:15], v[196:197]
	v_add_f64 v[72:73], v[198:199], v[72:73]
	v_mul_f64 v[198:199], v[64:65], s[28:29]
	v_add_f64 v[62:63], v[76:77], v[62:63]
	v_fma_f64 v[200:201], v[172:173], s[14:15], v[198:199]
	v_fma_f64 v[76:77], v[172:173], s[14:15], -v[198:199]
	v_add_f64 v[78:79], v[200:201], v[78:79]
	v_mul_f64 v[200:201], v[66:67], s[40:41]
	v_add_f64 v[74:75], v[76:77], v[74:75]
	v_fma_f64 v[202:203], v[176:177], s[0:1], -v[200:201]
	;; [unrolled: 10-line block ×3, first 2 shown]
	v_fma_f64 v[76:77], v[186:187], s[16:17], v[204:205]
	v_add_f64 v[208:209], v[206:207], v[72:73]
	v_mul_f64 v[72:73], v[60:61], s[38:39]
	v_add_f64 v[76:77], v[76:77], v[62:63]
	v_mul_f64 v[62:63], v[56:57], s[22:23]
	v_mul_f64 v[56:57], v[56:57], s[24:25]
	v_fma_f64 v[206:207], v[190:191], s[16:17], v[72:73]
	v_fma_f64 v[72:73], v[190:191], s[16:17], -v[72:73]
	v_add_f64 v[210:211], v[206:207], v[78:79]
	v_add_f64 v[78:79], v[72:73], v[74:75]
	v_fma_f64 v[72:73], v[38:39], s[4:5], -v[62:63]
	v_mul_f64 v[74:75], v[58:59], s[30:31]
	buffer_store_dword v208, off, s[48:51], 0 offset:112 ; 4-byte Folded Spill
	buffer_store_dword v209, off, s[48:51], 0 offset:116 ; 4-byte Folded Spill
	;; [unrolled: 1-line block ×8, first 2 shown]
	v_add_f64 v[72:73], v[0:1], v[72:73]
	v_fma_f64 v[76:77], v[42:43], s[14:15], -v[74:75]
	v_fma_f64 v[62:63], v[38:39], s[4:5], v[62:63]
	v_fma_f64 v[74:75], v[42:43], s[14:15], v[74:75]
	v_mul_f64 v[58:59], v[58:59], s[34:35]
	v_add_f64 v[72:73], v[76:77], v[72:73]
	v_mul_f64 v[76:77], v[88:89], s[22:23]
	v_add_f64 v[62:63], v[0:1], v[62:63]
	v_fma_f64 v[78:79], v[48:49], s[4:5], v[76:77]
	v_add_f64 v[62:63], v[74:75], v[62:63]
	v_fma_f64 v[74:75], v[48:49], s[4:5], -v[76:77]
	v_fma_f64 v[76:77], v[50:51], s[14:15], -v[80:81]
	v_add_f64 v[78:79], v[2:3], v[78:79]
	v_add_f64 v[74:75], v[2:3], v[74:75]
	;; [unrolled: 1-line block ×3, first 2 shown]
	v_mul_f64 v[82:83], v[92:93], s[26:27]
	v_add_f64 v[74:75], v[76:77], v[74:75]
	v_fma_f64 v[194:195], v[54:55], s[16:17], -v[82:83]
	v_fma_f64 v[76:77], v[54:55], s[16:17], v[82:83]
	v_add_f64 v[72:73], v[194:195], v[72:73]
	v_mul_f64 v[194:195], v[94:95], s[26:27]
	v_add_f64 v[62:63], v[76:77], v[62:63]
	v_fma_f64 v[196:197], v[164:165], s[16:17], v[194:195]
	v_fma_f64 v[76:77], v[164:165], s[16:17], -v[194:195]
	v_add_f64 v[78:79], v[196:197], v[78:79]
	v_mul_f64 v[196:197], v[182:183], s[40:41]
	v_add_f64 v[74:75], v[76:77], v[74:75]
	v_fma_f64 v[198:199], v[168:169], s[0:1], -v[196:197]
	v_fma_f64 v[76:77], v[168:169], s[0:1], v[196:197]
	v_add_f64 v[72:73], v[198:199], v[72:73]
	v_mul_f64 v[198:199], v[64:65], s[40:41]
	v_add_f64 v[62:63], v[76:77], v[62:63]
	v_mul_f64 v[64:65], v[64:65], s[38:39]
	v_fma_f64 v[200:201], v[172:173], s[0:1], v[198:199]
	v_fma_f64 v[76:77], v[172:173], s[0:1], -v[198:199]
	v_add_f64 v[78:79], v[200:201], v[78:79]
	v_mul_f64 v[200:201], v[66:67], s[34:35]
	v_add_f64 v[74:75], v[76:77], v[74:75]
	v_mul_f64 v[66:67], v[66:67], s[20:21]
	v_fma_f64 v[202:203], v[176:177], s[18:19], -v[200:201]
	v_fma_f64 v[76:77], v[176:177], s[18:19], v[200:201]
	v_add_f64 v[72:73], v[202:203], v[72:73]
	v_mul_f64 v[202:203], v[68:69], s[34:35]
	v_add_f64 v[62:63], v[76:77], v[62:63]
	v_mul_f64 v[68:69], v[68:69], s[20:21]
	v_fma_f64 v[204:205], v[180:181], s[18:19], v[202:203]
	v_fma_f64 v[76:77], v[180:181], s[18:19], -v[202:203]
	v_add_f64 v[78:79], v[204:205], v[78:79]
	v_mul_f64 v[204:205], v[70:71], s[20:21]
	v_add_f64 v[74:75], v[76:77], v[74:75]
	v_mul_f64 v[70:71], v[70:71], s[30:31]
	v_fma_f64 v[206:207], v[186:187], s[12:13], -v[204:205]
	v_fma_f64 v[76:77], v[186:187], s[12:13], v[204:205]
	v_add_f64 v[208:209], v[206:207], v[72:73]
	v_mul_f64 v[72:73], v[60:61], s[20:21]
	v_add_f64 v[76:77], v[76:77], v[62:63]
	v_fma_f64 v[62:63], v[38:39], s[0:1], -v[56:57]
	v_fma_f64 v[56:57], v[38:39], s[0:1], v[56:57]
	v_mul_f64 v[60:61], v[60:61], s[30:31]
	v_fma_f64 v[206:207], v[190:191], s[12:13], v[72:73]
	v_fma_f64 v[72:73], v[190:191], s[12:13], -v[72:73]
	v_add_f64 v[62:63], v[0:1], v[62:63]
	v_add_f64 v[56:57], v[0:1], v[56:57]
	;; [unrolled: 1-line block ×4, first 2 shown]
	v_fma_f64 v[72:73], v[42:43], s[18:19], -v[58:59]
	buffer_store_dword v208, off, s[48:51], 0 offset:96 ; 4-byte Folded Spill
	buffer_store_dword v209, off, s[48:51], 0 offset:100 ; 4-byte Folded Spill
	;; [unrolled: 1-line block ×8, first 2 shown]
	v_add_f64 v[62:63], v[72:73], v[62:63]
	v_mul_f64 v[72:73], v[88:89], s[24:25]
	v_mul_f64 v[74:75], v[90:91], s[34:35]
	v_fma_f64 v[58:59], v[42:43], s[18:19], v[58:59]
	v_fma_f64 v[76:77], v[48:49], s[0:1], v[72:73]
	;; [unrolled: 1-line block ×3, first 2 shown]
	v_add_f64 v[56:57], v[58:59], v[56:57]
	v_fma_f64 v[58:59], v[48:49], s[0:1], -v[72:73]
	v_add_f64 v[76:77], v[2:3], v[76:77]
	v_add_f64 v[58:59], v[2:3], v[58:59]
	;; [unrolled: 1-line block ×3, first 2 shown]
	v_mul_f64 v[78:79], v[92:93], s[22:23]
	v_fma_f64 v[80:81], v[54:55], s[4:5], -v[78:79]
	v_add_f64 v[62:63], v[80:81], v[62:63]
	v_mul_f64 v[80:81], v[94:95], s[22:23]
	v_fma_f64 v[82:83], v[164:165], s[4:5], v[80:81]
	v_add_f64 v[76:77], v[82:83], v[76:77]
	v_mul_f64 v[82:83], v[182:183], s[38:39]
	v_fma_f64 v[88:89], v[168:169], s[16:17], -v[82:83]
	v_add_f64 v[62:63], v[88:89], v[62:63]
	v_fma_f64 v[88:89], v[172:173], s[16:17], v[64:65]
	v_add_f64 v[76:77], v[88:89], v[76:77]
	v_fma_f64 v[88:89], v[176:177], s[12:13], -v[66:67]
	v_add_f64 v[62:63], v[88:89], v[62:63]
	v_fma_f64 v[88:89], v[180:181], s[12:13], v[68:69]
	v_add_f64 v[76:77], v[88:89], v[76:77]
	v_fma_f64 v[88:89], v[186:187], s[14:15], -v[70:71]
	v_add_f64 v[88:89], v[88:89], v[62:63]
	v_fma_f64 v[62:63], v[190:191], s[14:15], v[60:61]
	v_fma_f64 v[60:61], v[190:191], s[14:15], -v[60:61]
	v_add_f64 v[90:91], v[62:63], v[76:77]
	v_fma_f64 v[62:63], v[50:51], s[18:19], -v[74:75]
	buffer_store_dword v88, off, s[48:51], 0 offset:160 ; 4-byte Folded Spill
	buffer_store_dword v89, off, s[48:51], 0 offset:164 ; 4-byte Folded Spill
	;; [unrolled: 1-line block ×4, first 2 shown]
	v_add_f64 v[58:59], v[62:63], v[58:59]
	v_fma_f64 v[62:63], v[54:55], s[4:5], v[78:79]
	v_add_f64 v[56:57], v[62:63], v[56:57]
	v_fma_f64 v[62:63], v[164:165], s[4:5], -v[80:81]
	v_add_f64 v[58:59], v[62:63], v[58:59]
	v_fma_f64 v[62:63], v[168:169], s[16:17], v[82:83]
	v_add_f64 v[56:57], v[62:63], v[56:57]
	v_fma_f64 v[62:63], v[172:173], s[16:17], -v[64:65]
	v_mov_b32_e32 v65, 4
	v_add_co_u32 v64, s20, 0x75, v193
	v_add_f64 v[58:59], v[62:63], v[58:59]
	v_fma_f64 v[62:63], v[176:177], s[12:13], v[66:67]
	v_add_f64 v[56:57], v[62:63], v[56:57]
	v_fma_f64 v[62:63], v[180:181], s[12:13], -v[68:69]
	v_add_f64 v[58:59], v[62:63], v[58:59]
	v_fma_f64 v[62:63], v[186:187], s[14:15], v[70:71]
	v_add_f64 v[58:59], v[60:61], v[58:59]
	v_add_f64 v[56:57], v[62:63], v[56:57]
	buffer_store_dword v56, off, s[48:51], 0 offset:144 ; 4-byte Folded Spill
	buffer_store_dword v57, off, s[48:51], 0 offset:148 ; 4-byte Folded Spill
	;; [unrolled: 1-line block ×4, first 2 shown]
	v_mul_lo_u16 v56, v193, 13
	s_waitcnt_vscnt null, 0x0
	s_barrier
	buffer_gl0_inv
	v_lshlrev_b32_sdwa v195, v65, v56 dst_sel:DWORD dst_unused:UNUSED_PAD src0_sel:DWORD src1_sel:WORD_0
	ds_write_b128 v195, v[140:143]
	ds_write_b128 v195, v[12:15] offset:16
	ds_write_b128 v195, v[148:151] offset:32
	;; [unrolled: 1-line block ×12, first 2 shown]
	v_add_co_ci_u32_e64 v8, null, 0, 0, s20
	v_mul_u32_u24_e32 v8, 13, v64
	buffer_store_dword v8, off, s[48:51], 0 offset:760 ; 4-byte Folded Spill
	s_and_saveexec_b32 s20, vcc_lo
	s_cbranch_execz .LBB0_7
; %bb.6:
	v_mul_f64 v[8:9], v[48:49], s[18:19]
	v_mul_f64 v[10:11], v[38:39], s[18:19]
	;; [unrolled: 1-line block ×4, first 2 shown]
	v_add_f64 v[6:7], v[2:3], v[6:7]
	v_add_f64 v[4:5], v[0:1], v[4:5]
	v_mul_f64 v[16:17], v[54:55], s[14:15]
	v_mul_f64 v[18:19], v[164:165], s[14:15]
	v_add_f64 v[8:9], v[46:47], v[8:9]
	v_add_f64 v[10:11], v[10:11], -v[36:37]
	v_add_f64 v[12:13], v[44:45], v[12:13]
	v_add_f64 v[14:15], v[14:15], -v[40:41]
	v_add_f64 v[6:7], v[6:7], v[98:99]
	v_add_f64 v[4:5], v[4:5], v[96:97]
	v_add_f64 v[16:17], v[16:17], -v[52:53]
	v_add_f64 v[18:19], v[86:87], v[18:19]
	v_add_f64 v[2:3], v[2:3], v[8:9]
	;; [unrolled: 1-line block ×3, first 2 shown]
	v_mul_f64 v[8:9], v[168:169], s[12:13]
	v_mul_f64 v[10:11], v[172:173], s[12:13]
	v_add_f64 v[6:7], v[6:7], v[102:103]
	v_add_f64 v[4:5], v[4:5], v[100:101]
	;; [unrolled: 1-line block ×4, first 2 shown]
	v_mul_f64 v[12:13], v[176:177], s[4:5]
	v_mul_f64 v[14:15], v[180:181], s[4:5]
	v_add_f64 v[10:11], v[170:171], v[10:11]
	v_add_f64 v[8:9], v[8:9], -v[166:167]
	v_add_f64 v[6:7], v[6:7], v[106:107]
	v_add_f64 v[4:5], v[4:5], v[104:105]
	;; [unrolled: 1-line block ×4, first 2 shown]
	v_mul_f64 v[16:17], v[186:187], s[0:1]
	v_mul_f64 v[18:19], v[190:191], s[0:1]
	v_add_f64 v[14:15], v[178:179], v[14:15]
	v_add_f64 v[12:13], v[12:13], -v[174:175]
	v_add_f64 v[6:7], v[6:7], v[110:111]
	v_add_f64 v[4:5], v[4:5], v[108:109]
	;; [unrolled: 1-line block ×4, first 2 shown]
	v_add_f64 v[10:11], v[16:17], -v[184:185]
	v_add_f64 v[8:9], v[188:189], v[18:19]
	v_add_f64 v[6:7], v[6:7], v[114:115]
	;; [unrolled: 1-line block ×9, first 2 shown]
	s_clause 0x3
	buffer_load_dword v9, off, s[48:51], 0 offset:128
	buffer_load_dword v10, off, s[48:51], 0 offset:132
	;; [unrolled: 1-line block ×4, first 2 shown]
	v_mul_u32_u24_e32 v8, 13, v64
	v_add_f64 v[6:7], v[6:7], v[122:123]
	v_add_f64 v[4:5], v[4:5], v[120:121]
	v_lshlrev_b32_e32 v8, 4, v8
	v_add_f64 v[6:7], v[6:7], v[126:127]
	v_add_f64 v[4:5], v[4:5], v[124:125]
	;; [unrolled: 1-line block ×8, first 2 shown]
	s_waitcnt vmcnt(0)
	ds_write_b128 v8, v[9:12] offset:32
	s_clause 0x3
	buffer_load_dword v9, off, s[48:51], 0 offset:80
	buffer_load_dword v10, off, s[48:51], 0 offset:84
	buffer_load_dword v11, off, s[48:51], 0 offset:88
	buffer_load_dword v12, off, s[48:51], 0 offset:92
	s_waitcnt vmcnt(0)
	ds_write_b128 v8, v[9:12] offset:48
	s_clause 0x3
	buffer_load_dword v9, off, s[48:51], 0 offset:112
	buffer_load_dword v10, off, s[48:51], 0 offset:116
	buffer_load_dword v11, off, s[48:51], 0 offset:120
	buffer_load_dword v12, off, s[48:51], 0 offset:124
	;; [unrolled: 7-line block ×9, first 2 shown]
	s_waitcnt vmcnt(0)
	ds_write_b128 v8, v[9:12] offset:176
	ds_write_b128 v8, v[0:3] offset:16
	ds_write_b128 v8, v[4:7]
	s_clause 0x3
	buffer_load_dword v0, off, s[48:51], 0
	buffer_load_dword v1, off, s[48:51], 0 offset:4
	buffer_load_dword v2, off, s[48:51], 0 offset:8
	;; [unrolled: 1-line block ×3, first 2 shown]
	s_waitcnt vmcnt(0)
	ds_write_b128 v8, v[0:3] offset:192
.LBB0_7:
	s_or_b32 exec_lo, exec_lo, s20
	v_and_b32_e32 v104, 0xff, v193
	v_and_b32_e32 v105, 0xff, v64
	s_waitcnt lgkmcnt(0)
	s_waitcnt_vscnt null, 0x0
	s_barrier
	buffer_gl0_inv
	v_mul_lo_u16 v0, 0x4f, v104
	v_mul_lo_u16 v1, 0x4f, v105
	v_add_co_u32 v204, null, 0xea, v193
	v_add_nc_u32_e32 v66, 0x15f, v193
	v_lshrrev_b16 v107, 10, v0
	v_lshrrev_b16 v128, 10, v1
	v_add_nc_u32_e32 v67, 0x1d4, v193
	s_mov_b32 s0, 0xe8584caa
	s_mov_b32 s1, 0x3febb67a
	v_mul_lo_u16 v0, v107, 13
	s_mov_b32 s5, 0xbfebb67a
	s_mov_b32 s4, s0
	s_mov_b32 s13, 0xbfee6f0e
	s_mov_b32 s14, 0x372fe950
	v_sub_nc_u16 v2, v193, v0
	v_mov_b32_e32 v0, 0x4ec5
	s_mov_b32 s15, 0x3fd3c6ef
	v_and_b32_e32 v106, 0xff, v2
	v_mul_u32_u24_sdwa v3, v204, v0 dst_sel:DWORD dst_unused:UNUSED_PAD src0_sel:WORD_0 src1_sel:DWORD
	v_mul_lo_u16 v2, v128, 13
	v_lshlrev_b32_e32 v1, 5, v106
	v_lshrrev_b32_e32 v129, 18, v3
	v_sub_nc_u16 v2, v64, v2
	s_clause 0x1
	global_load_dwordx4 v[68:71], v1, s[2:3]
	global_load_dwordx4 v[60:63], v1, s[2:3] offset:16
	v_mul_lo_u16 v3, v129, 13
	v_mul_u32_u24_sdwa v1, v66, v0 dst_sel:DWORD dst_unused:UNUSED_PAD src0_sel:WORD_0 src1_sel:DWORD
	v_mul_u32_u24_sdwa v0, v67, v0 dst_sel:DWORD dst_unused:UNUSED_PAD src0_sel:WORD_0 src1_sel:DWORD
	v_and_b32_e32 v130, 0xff, v2
	v_sub_nc_u16 v78, v204, v3
	v_lshrrev_b32_e32 v79, 18, v1
	v_lshrrev_b32_e32 v80, 18, v0
	v_lshlrev_b32_e32 v2, 5, v130
	v_lshlrev_b16 v1, 1, v78
	v_mul_lo_u16 v3, v79, 13
	v_mul_lo_u16 v0, v80, 13
	s_clause 0x1
	global_load_dwordx4 v[120:123], v2, s[2:3]
	global_load_dwordx4 v[116:119], v2, s[2:3] offset:16
	v_lshlrev_b32_sdwa v1, v65, v1 dst_sel:DWORD dst_unused:UNUSED_PAD src0_sel:DWORD src1_sel:WORD_0
	v_sub_nc_u16 v81, v66, v3
	v_sub_nc_u16 v82, v67, v0
	s_clause 0x1
	global_load_dwordx4 v[112:115], v1, s[2:3]
	global_load_dwordx4 v[108:111], v1, s[2:3] offset:16
	v_lshlrev_b16 v1, 1, v81
	v_mad_u16 v148, v80, 39, v82
	v_lshlrev_b32_sdwa v0, v65, v1 dst_sel:DWORD dst_unused:UNUSED_PAD src0_sel:DWORD src1_sel:WORD_0
	v_lshlrev_b16 v1, 1, v82
	global_load_dwordx4 v[74:77], v0, s[2:3]
	v_lshlrev_b32_sdwa v1, v65, v1 dst_sel:DWORD dst_unused:UNUSED_PAD src0_sel:DWORD src1_sel:WORD_0
	s_clause 0x2
	global_load_dwordx4 v[94:97], v0, s[2:3] offset:16
	global_load_dwordx4 v[86:89], v1, s[2:3]
	global_load_dwordx4 v[90:93], v1, s[2:3] offset:16
	ds_read_b128 v[0:3], v192 offset:9360
	ds_read_b128 v[4:7], v192 offset:18720
	;; [unrolled: 1-line block ×11, first 2 shown]
	s_waitcnt vmcnt(9) lgkmcnt(10)
	v_mul_f64 v[40:41], v[2:3], v[70:71]
	v_mul_f64 v[42:43], v[0:1], v[70:71]
	s_waitcnt vmcnt(8) lgkmcnt(9)
	v_mul_f64 v[44:45], v[6:7], v[62:63]
	v_mul_f64 v[46:47], v[4:5], v[62:63]
	;; [unrolled: 3-line block ×4, first 2 shown]
	s_waitcnt vmcnt(5) lgkmcnt(6)
	v_mul_f64 v[56:57], v[18:19], v[114:115]
	v_fma_f64 v[58:59], v[0:1], v[68:69], -v[40:41]
	buffer_store_dword v68, off, s[48:51], 0 offset:512 ; 4-byte Folded Spill
	buffer_store_dword v69, off, s[48:51], 0 offset:516 ; 4-byte Folded Spill
	;; [unrolled: 1-line block ×4, first 2 shown]
	v_mul_f64 v[0:1], v[16:17], v[114:115]
	v_fma_f64 v[8:9], v[8:9], v[120:121], -v[48:49]
	s_waitcnt vmcnt(2) lgkmcnt(3)
	v_mul_f64 v[48:49], v[26:27], v[96:97]
	s_waitcnt vmcnt(0) lgkmcnt(0)
	v_mul_f64 v[72:73], v[36:37], v[92:93]
	v_fma_f64 v[40:41], v[2:3], v[68:69], v[42:43]
	v_fma_f64 v[42:43], v[4:5], v[60:61], -v[44:45]
	buffer_store_dword v60, off, s[48:51], 0 offset:480 ; 4-byte Folded Spill
	buffer_store_dword v61, off, s[48:51], 0 offset:484 ; 4-byte Folded Spill
	buffer_store_dword v62, off, s[48:51], 0 offset:488 ; 4-byte Folded Spill
	buffer_store_dword v63, off, s[48:51], 0 offset:492 ; 4-byte Folded Spill
	buffer_store_dword v120, off, s[48:51], 0 offset:656 ; 4-byte Folded Spill
	buffer_store_dword v121, off, s[48:51], 0 offset:660 ; 4-byte Folded Spill
	buffer_store_dword v122, off, s[48:51], 0 offset:664 ; 4-byte Folded Spill
	buffer_store_dword v123, off, s[48:51], 0 offset:668 ; 4-byte Folded Spill
	v_mul_f64 v[2:3], v[22:23], v[110:111]
	v_mul_f64 v[4:5], v[20:21], v[110:111]
	;; [unrolled: 1-line block ×3, first 2 shown]
	v_fma_f64 v[68:69], v[20:21], v[108:109], -v[2:3]
	v_fma_f64 v[20:21], v[24:25], v[94:95], -v[48:49]
	v_fma_f64 v[44:45], v[6:7], v[60:61], v[46:47]
	v_fma_f64 v[10:11], v[10:11], v[120:121], v[50:51]
	v_fma_f64 v[50:51], v[12:13], v[116:117], -v[52:53]
	buffer_store_dword v116, off, s[48:51], 0 offset:640 ; 4-byte Folded Spill
	buffer_store_dword v117, off, s[48:51], 0 offset:644 ; 4-byte Folded Spill
	;; [unrolled: 1-line block ×4, first 2 shown]
	v_mul_f64 v[6:7], v[30:31], v[76:77]
	v_mul_f64 v[46:47], v[28:29], v[76:77]
	;; [unrolled: 1-line block ×4, first 2 shown]
	v_fma_f64 v[52:53], v[14:15], v[116:117], v[54:55]
	v_fma_f64 v[54:55], v[16:17], v[112:113], -v[56:57]
	buffer_store_dword v112, off, s[48:51], 0 offset:624 ; 4-byte Folded Spill
	buffer_store_dword v113, off, s[48:51], 0 offset:628 ; 4-byte Folded Spill
	;; [unrolled: 1-line block ×8, first 2 shown]
	v_mul_f64 v[14:15], v[34:35], v[88:89]
	v_fma_f64 v[16:17], v[28:29], v[74:75], -v[6:7]
	buffer_store_dword v74, off, s[48:51], 0 offset:576 ; 4-byte Folded Spill
	buffer_store_dword v75, off, s[48:51], 0 offset:580 ; 4-byte Folded Spill
	buffer_store_dword v76, off, s[48:51], 0 offset:584 ; 4-byte Folded Spill
	buffer_store_dword v77, off, s[48:51], 0 offset:588 ; 4-byte Folded Spill
	buffer_store_dword v94, off, s[48:51], 0 offset:560 ; 4-byte Folded Spill
	buffer_store_dword v95, off, s[48:51], 0 offset:564 ; 4-byte Folded Spill
	buffer_store_dword v96, off, s[48:51], 0 offset:568 ; 4-byte Folded Spill
	buffer_store_dword v97, off, s[48:51], 0 offset:572 ; 4-byte Folded Spill
	v_fma_f64 v[56:57], v[18:19], v[112:113], v[0:1]
	v_fma_f64 v[70:71], v[22:23], v[108:109], v[4:5]
	ds_read_b128 v[0:3], v192
	ds_read_b128 v[4:7], v192 offset:1872
	v_fma_f64 v[18:19], v[32:33], v[86:87], -v[14:15]
	buffer_store_dword v86, off, s[48:51], 0 offset:528 ; 4-byte Folded Spill
	buffer_store_dword v87, off, s[48:51], 0 offset:532 ; 4-byte Folded Spill
	;; [unrolled: 1-line block ×4, first 2 shown]
	v_fma_f64 v[22:23], v[36:37], v[90:91], -v[62:63]
	buffer_store_dword v90, off, s[48:51], 0 offset:544 ; 4-byte Folded Spill
	buffer_store_dword v91, off, s[48:51], 0 offset:548 ; 4-byte Folded Spill
	;; [unrolled: 1-line block ×4, first 2 shown]
	v_fma_f64 v[74:75], v[30:31], v[74:75], v[46:47]
	v_add_f64 v[30:31], v[8:9], v[50:51]
	v_add_f64 v[36:37], v[10:11], v[52:53]
	v_fma_f64 v[76:77], v[26:27], v[94:95], v[12:13]
	v_add_f64 v[12:13], v[58:59], v[42:43]
	v_add_f64 v[14:15], v[40:41], v[44:45]
	s_waitcnt lgkmcnt(1)
	v_add_f64 v[46:47], v[2:3], v[40:41]
	v_add_f64 v[48:49], v[0:1], v[58:59]
	v_add_f64 v[40:41], v[40:41], -v[44:45]
	v_fma_f64 v[32:33], v[12:13], -0.5, v[0:1]
	v_fma_f64 v[28:29], v[14:15], -0.5, v[2:3]
	ds_read_b128 v[0:3], v192 offset:3744
	ds_read_b128 v[12:15], v192 offset:5616
	s_waitcnt lgkmcnt(0)
	s_waitcnt_vscnt null, 0x0
	s_barrier
	buffer_gl0_inv
	v_add_f64 v[62:63], v[2:3], v[56:57]
	v_fma_f64 v[24:25], v[34:35], v[86:87], v[60:61]
	v_add_f64 v[60:61], v[6:7], v[10:11]
	v_fma_f64 v[34:35], v[30:31], -0.5, v[4:5]
	v_fma_f64 v[30:31], v[36:37], -0.5, v[6:7]
	v_add_f64 v[6:7], v[54:55], v[68:69]
	v_fma_f64 v[26:27], v[38:39], v[90:91], v[72:73]
	v_add_f64 v[72:73], v[0:1], v[54:55]
	v_add_f64 v[4:5], v[4:5], v[8:9]
	v_add_f64 v[86:87], v[74:75], -v[76:77]
	v_fma_f64 v[36:37], v[6:7], -0.5, v[0:1]
	v_add_f64 v[6:7], v[56:57], v[70:71]
	v_add_f64 v[0:1], v[48:49], v[42:43]
	;; [unrolled: 1-line block ×3, first 2 shown]
	v_add_f64 v[48:49], v[8:9], -v[50:51]
	v_add_f64 v[50:51], v[54:55], -v[68:69]
	v_add_f64 v[54:55], v[74:75], v[76:77]
	v_add_f64 v[8:9], v[72:73], v[68:69]
	v_add_f64 v[68:69], v[18:19], -v[22:23]
	v_fma_f64 v[38:39], v[6:7], -0.5, v[2:3]
	v_add_f64 v[2:3], v[46:47], v[44:45]
	v_add_f64 v[46:47], v[58:59], -v[42:43]
	v_add_f64 v[42:43], v[10:11], -v[52:53]
	v_add_f64 v[6:7], v[60:61], v[52:53]
	v_add_f64 v[44:45], v[56:57], -v[70:71]
	v_add_f64 v[10:11], v[62:63], v[70:71]
	v_mov_b32_e32 v60, 39
	v_mov_b32_e32 v70, 0xa41b
	v_add_f64 v[52:53], v[16:17], v[20:21]
	v_add_f64 v[56:57], v[18:19], v[22:23]
	;; [unrolled: 1-line block ×3, first 2 shown]
	v_mul_u32_u24_sdwa v107, v107, v60 dst_sel:DWORD dst_unused:UNUSED_PAD src0_sel:WORD_0 src1_sel:DWORD
	v_mul_u32_u24_sdwa v131, v128, v60 dst_sel:DWORD dst_unused:UNUSED_PAD src0_sel:WORD_0 src1_sel:DWORD
	;; [unrolled: 1-line block ×3, first 2 shown]
	v_fma_f64 v[54:55], v[54:55], -0.5, v[14:15]
	v_add_f64 v[14:15], v[14:15], v[74:75]
	v_mad_u16 v128, v129, 39, v78
	v_mad_u16 v129, v79, 39, v81
	v_lshrrev_b32_e32 v60, 16, v60
	v_add_lshl_u32 v80, v107, v106, 4
	v_add_lshl_u32 v79, v131, v130, 4
	v_lshlrev_b32_sdwa v78, v65, v128 dst_sel:DWORD dst_unused:UNUSED_PAD src0_sel:DWORD src1_sel:WORD_0
	v_sub_nc_u16 v61, v204, v60
	v_mov_b32_e32 v154, v80
	v_mov_b32_e32 v155, v79
	v_lshrrev_b16 v61, 1, v61
	v_fma_f64 v[52:53], v[52:53], -0.5, v[12:13]
	v_add_f64 v[12:13], v[12:13], v[16:17]
	v_fma_f64 v[56:57], v[56:57], -0.5, v[100:101]
	v_add_nc_u16 v60, v61, v60
	v_mul_lo_u16 v61, 0xa5, v104
	v_fma_f64 v[58:59], v[58:59], -0.5, v[102:103]
	v_add_f64 v[102:103], v[102:103], v[24:25]
	v_add_f64 v[100:101], v[100:101], v[18:19]
	v_lshrrev_b16 v72, 5, v60
	v_lshrrev_b16 v61, 8, v61
	v_add_f64 v[14:15], v[14:15], v[76:77]
	v_lshlrev_b32_sdwa v77, v65, v129 dst_sel:DWORD dst_unused:UNUSED_PAD src0_sel:DWORD src1_sel:WORD_0
	v_lshlrev_b32_sdwa v76, v65, v148 dst_sel:DWORD dst_unused:UNUSED_PAD src0_sel:DWORD src1_sel:WORD_0
	v_sub_nc_u16 v62, v193, v61
	v_lshrrev_b16 v62, 1, v62
	v_add_f64 v[12:13], v[12:13], v[20:21]
	v_and_b32_e32 v62, 0x7f, v62
	v_add_f64 v[18:19], v[102:103], v[26:27]
	v_add_nc_u16 v61, v62, v61
	v_mul_lo_u16 v62, 0xa5, v105
	v_lshrrev_b16 v61, 5, v61
	v_lshrrev_b16 v62, 8, v62
	v_and_b32_e32 v71, 7, v61
	v_sub_nc_u16 v63, v64, v62
	v_add_f64 v[60:61], v[16:17], -v[20:21]
	v_fma_f64 v[20:21], v[40:41], s[0:1], v[32:33]
	v_mul_lo_u16 v16, v71, 39
	v_lshrrev_b16 v63, 1, v63
	v_sub_nc_u16 v75, v193, v16
	v_and_b32_e32 v63, 0x7f, v63
	v_add_f64 v[16:17], v[100:101], v[22:23]
	v_fma_f64 v[22:23], v[46:47], s[4:5], v[28:29]
	ds_write_b128 v80, v[0:3]
	ds_write_b128 v80, v[20:23] offset:208
	v_add_nc_u16 v62, v63, v62
	v_lshrrev_b16 v62, 5, v62
	v_and_b32_e32 v73, 7, v62
	v_add_f64 v[62:63], v[24:25], -v[26:27]
	v_fma_f64 v[24:25], v[40:41], s[4:5], v[32:33]
	v_fma_f64 v[26:27], v[46:47], s[0:1], v[28:29]
	;; [unrolled: 1-line block ×16, first 2 shown]
	v_mul_lo_u16 v74, v73, 39
	v_mul_lo_u16 v61, v72, 39
	ds_write_b128 v80, v[24:27] offset:416
	ds_write_b128 v79, v[4:7]
	ds_write_b128 v79, v[32:35] offset:208
	v_fma_f64 v[52:53], v[62:63], s[0:1], v[56:57]
	v_fma_f64 v[56:57], v[62:63], s[4:5], v[56:57]
	v_sub_nc_u16 v60, v64, v74
	v_and_b32_e32 v74, 0xff, v75
	ds_write_b128 v79, v[28:31] offset:416
	ds_write_b128 v78, v[8:11]
	ds_write_b128 v78, v[40:43] offset:208
	buffer_store_dword v78, off, s[48:51], 0 offset:748 ; 4-byte Folded Spill
	ds_write_b128 v78, v[36:39] offset:416
	ds_write_b128 v77, v[12:15]
	ds_write_b128 v77, v[44:47] offset:208
	v_and_b32_e32 v75, 0xff, v60
	buffer_store_dword v77, off, s[48:51], 0 offset:744 ; 4-byte Folded Spill
	ds_write_b128 v77, v[48:51] offset:416
	ds_write_b128 v76, v[16:19]
	ds_write_b128 v76, v[52:55] offset:208
	buffer_store_dword v76, off, s[48:51], 0 offset:740 ; 4-byte Folded Spill
	v_lshlrev_b32_e32 v60, 5, v74
	ds_write_b128 v76, v[56:59] offset:416
	v_sub_nc_u16 v76, v204, v61
	v_lshlrev_b32_e32 v2, 5, v75
	s_waitcnt lgkmcnt(0)
	s_waitcnt_vscnt null, 0x0
	s_barrier
	buffer_gl0_inv
	v_lshlrev_b16 v0, 5, v76
	s_clause 0x2
	global_load_dwordx4 v[168:171], v60, s[2:3] offset:416
	global_load_dwordx4 v[164:167], v60, s[2:3] offset:432
	;; [unrolled: 1-line block ×3, first 2 shown]
	v_mul_u32_u24_sdwa v36, v66, v70 dst_sel:DWORD dst_unused:UNUSED_PAD src0_sel:WORD_0 src1_sel:DWORD
	v_and_b32_e32 v0, 0xffff, v0
	v_lshrrev_b32_e32 v44, 16, v36
	v_add_co_u32 v0, s12, s2, v0
	v_add_co_ci_u32_e64 v1, null, s3, 0, s12
	s_clause 0x2
	global_load_dwordx4 v[160:163], v2, s[2:3] offset:432
	global_load_dwordx4 v[45:48], v[0:1], off offset:416
	global_load_dwordx4 v[156:159], v[0:1], off offset:432
	ds_read_b128 v[0:3], v192 offset:9360
	ds_read_b128 v[4:7], v192 offset:18720
	;; [unrolled: 1-line block ×6, first 2 shown]
	s_waitcnt vmcnt(4) lgkmcnt(4)
	v_mul_f64 v[28:29], v[6:7], v[166:167]
	s_waitcnt vmcnt(3) lgkmcnt(3)
	v_mul_f64 v[32:33], v[10:11], v[51:52]
	v_mul_f64 v[24:25], v[2:3], v[170:171]
	;; [unrolled: 1-line block ×5, first 2 shown]
	s_waitcnt vmcnt(2) lgkmcnt(2)
	v_mul_f64 v[36:37], v[14:15], v[162:163]
	s_waitcnt vmcnt(1) lgkmcnt(0)
	v_mul_f64 v[40:41], v[22:23], v[47:48]
	v_mul_f64 v[42:43], v[20:21], v[47:48]
	;; [unrolled: 1-line block ×3, first 2 shown]
	v_fma_f64 v[28:29], v[4:5], v[164:165], -v[28:29]
	v_sub_nc_u16 v4, v66, v44
	v_fma_f64 v[32:33], v[8:9], v[49:50], -v[32:33]
	buffer_store_dword v49, off, s[48:51], 0 offset:688 ; 4-byte Folded Spill
	buffer_store_dword v50, off, s[48:51], 0 offset:692 ; 4-byte Folded Spill
	;; [unrolled: 1-line block ×4, first 2 shown]
	v_fma_f64 v[24:25], v[0:1], v[168:169], -v[24:25]
	v_fma_f64 v[26:27], v[2:3], v[168:169], v[26:27]
	v_lshrrev_b16 v4, 1, v4
	v_fma_f64 v[30:31], v[6:7], v[164:165], v[30:31]
	ds_read_b128 v[0:3], v192 offset:22464
	v_add_nc_u16 v4, v4, v44
	v_fma_f64 v[36:37], v[12:13], v[160:161], -v[36:37]
	v_fma_f64 v[40:41], v[20:21], v[45:46], -v[40:41]
	v_lshrrev_b16 v77, 5, v4
	ds_read_b128 v[4:7], v192 offset:24336
	buffer_store_dword v45, off, s[48:51], 0 offset:672 ; 4-byte Folded Spill
	buffer_store_dword v46, off, s[48:51], 0 offset:676 ; 4-byte Folded Spill
	;; [unrolled: 1-line block ×4, first 2 shown]
	v_fma_f64 v[38:39], v[14:15], v[160:161], v[38:39]
	v_mul_lo_u16 v12, v77, 39
	v_sub_nc_u16 v78, v66, v12
	v_add_f64 v[20:21], v[24:25], -v[28:29]
	s_waitcnt vmcnt(0) lgkmcnt(1)
	v_mul_f64 v[8:9], v[2:3], v[158:159]
	v_lshlrev_b16 v12, 5, v78
	v_and_b32_e32 v12, 0xffff, v12
	v_fma_f64 v[34:35], v[10:11], v[49:50], v[34:35]
	v_mul_f64 v[10:11], v[0:1], v[158:159]
	v_fma_f64 v[42:43], v[22:23], v[45:46], v[42:43]
	v_fma_f64 v[44:45], v[0:1], v[156:157], -v[8:9]
	v_add_co_u32 v0, s12, s2, v12
	v_add_co_ci_u32_e64 v1, null, s3, 0, s12
	s_clause 0x1
	global_load_dwordx4 v[180:183], v[0:1], off offset:416
	global_load_dwordx4 v[176:179], v[0:1], off offset:432
	v_fma_f64 v[46:47], v[2:3], v[156:157], v[10:11]
	ds_read_b128 v[0:3], v192 offset:14976
	ds_read_b128 v[8:11], v192 offset:16848
	s_waitcnt vmcnt(1) lgkmcnt(1)
	v_mul_f64 v[12:13], v[2:3], v[182:183]
	v_fma_f64 v[48:49], v[0:1], v[180:181], -v[12:13]
	v_mul_f64 v[0:1], v[0:1], v[182:183]
	v_add_f64 v[12:13], v[26:27], -v[30:31]
	v_fma_f64 v[50:51], v[2:3], v[180:181], v[0:1]
	s_waitcnt vmcnt(0)
	v_mul_f64 v[0:1], v[6:7], v[178:179]
	v_fma_f64 v[52:53], v[4:5], v[176:177], -v[0:1]
	v_mul_f64 v[0:1], v[4:5], v[178:179]
	v_fma_f64 v[54:55], v[6:7], v[176:177], v[0:1]
	v_mul_u32_u24_sdwa v0, v67, v70 dst_sel:DWORD dst_unused:UNUSED_PAD src0_sel:WORD_0 src1_sel:DWORD
	v_lshrrev_b32_e32 v0, 16, v0
	v_sub_nc_u16 v1, v67, v0
	v_lshrrev_b16 v1, 1, v1
	v_add_nc_u16 v0, v1, v0
	v_lshrrev_b16 v70, 5, v0
	v_mul_lo_u16 v0, v70, 39
	v_sub_nc_u16 v79, v67, v0
	v_lshlrev_b16 v0, 5, v79
	v_and_b32_e32 v0, 0xffff, v0
	v_add_co_u32 v0, s12, s2, v0
	v_add_co_ci_u32_e64 v1, null, s3, 0, s12
	s_clause 0x1
	global_load_dwordx4 v[188:191], v[0:1], off offset:416
	global_load_dwordx4 v[184:187], v[0:1], off offset:432
	s_waitcnt vmcnt(1) lgkmcnt(0)
	v_mul_f64 v[0:1], v[10:11], v[190:191]
	v_fma_f64 v[56:57], v[8:9], v[188:189], -v[0:1]
	v_mul_f64 v[0:1], v[8:9], v[190:191]
	v_add_f64 v[8:9], v[24:25], v[28:29]
	v_fma_f64 v[58:59], v[10:11], v[188:189], v[0:1]
	ds_read_b128 v[0:3], v192 offset:26208
	s_waitcnt vmcnt(0) lgkmcnt(0)
	v_mul_f64 v[4:5], v[2:3], v[186:187]
	v_fma_f64 v[60:61], v[0:1], v[184:185], -v[4:5]
	v_mul_f64 v[0:1], v[0:1], v[186:187]
	v_fma_f64 v[62:63], v[2:3], v[184:185], v[0:1]
	ds_read_b128 v[0:3], v192
	ds_read_b128 v[4:7], v192 offset:1872
	s_waitcnt lgkmcnt(1)
	v_fma_f64 v[10:11], v[8:9], -0.5, v[0:1]
	v_add_f64 v[8:9], v[26:27], v[30:31]
	v_add_f64 v[0:1], v[0:1], v[24:25]
	v_add_f64 v[24:25], v[34:35], -v[38:39]
	v_fma_f64 v[14:15], v[8:9], -0.5, v[2:3]
	v_fma_f64 v[8:9], v[12:13], s[0:1], v[10:11]
	v_fma_f64 v[12:13], v[12:13], s[4:5], v[10:11]
	v_add_f64 v[2:3], v[2:3], v[26:27]
	v_add_f64 v[0:1], v[0:1], v[28:29]
	v_add_f64 v[28:29], v[32:33], -v[36:37]
	v_fma_f64 v[10:11], v[20:21], s[4:5], v[14:15]
	v_fma_f64 v[14:15], v[20:21], s[0:1], v[14:15]
	v_add_f64 v[20:21], v[32:33], v[36:37]
	v_add_f64 v[2:3], v[2:3], v[30:31]
	s_waitcnt lgkmcnt(0)
	v_fma_f64 v[22:23], v[20:21], -0.5, v[4:5]
	v_add_f64 v[20:21], v[34:35], v[38:39]
	v_add_f64 v[4:5], v[4:5], v[32:33]
	v_fma_f64 v[26:27], v[20:21], -0.5, v[6:7]
	v_add_f64 v[6:7], v[6:7], v[34:35]
	v_add_f64 v[4:5], v[4:5], v[36:37]
	;; [unrolled: 1-line block ×3, first 2 shown]
	v_fma_f64 v[20:21], v[24:25], s[0:1], v[22:23]
	v_fma_f64 v[24:25], v[24:25], s[4:5], v[22:23]
	;; [unrolled: 1-line block ×4, first 2 shown]
	ds_read_b128 v[28:31], v192 offset:3744
	ds_read_b128 v[32:35], v192 offset:5616
	v_add_f64 v[6:7], v[6:7], v[38:39]
	s_waitcnt lgkmcnt(0)
	s_waitcnt_vscnt null, 0x0
	s_barrier
	buffer_gl0_inv
	v_fma_f64 v[38:39], v[36:37], -0.5, v[28:29]
	v_add_f64 v[36:37], v[42:43], v[46:47]
	v_add_f64 v[28:29], v[28:29], v[40:41]
	v_fma_f64 v[68:69], v[36:37], -0.5, v[30:31]
	v_add_f64 v[30:31], v[30:31], v[42:43]
	v_add_f64 v[42:43], v[42:43], -v[46:47]
	v_add_f64 v[28:29], v[28:29], v[44:45]
	v_add_f64 v[44:45], v[40:41], -v[44:45]
	v_add_f64 v[30:31], v[30:31], v[46:47]
	v_fma_f64 v[36:37], v[42:43], s[0:1], v[38:39]
	v_fma_f64 v[40:41], v[42:43], s[4:5], v[38:39]
	;; [unrolled: 1-line block ×4, first 2 shown]
	v_add_f64 v[44:45], v[48:49], v[52:53]
	v_fma_f64 v[46:47], v[44:45], -0.5, v[32:33]
	v_add_f64 v[44:45], v[50:51], v[54:55]
	v_add_f64 v[32:33], v[32:33], v[48:49]
	v_fma_f64 v[68:69], v[44:45], -0.5, v[34:35]
	v_add_f64 v[34:35], v[34:35], v[50:51]
	v_add_f64 v[50:51], v[50:51], -v[54:55]
	v_add_f64 v[32:33], v[32:33], v[52:53]
	v_add_f64 v[52:53], v[48:49], -v[52:53]
	v_add_f64 v[34:35], v[34:35], v[54:55]
	v_fma_f64 v[44:45], v[50:51], s[0:1], v[46:47]
	v_fma_f64 v[48:49], v[50:51], s[4:5], v[46:47]
	;; [unrolled: 1-line block ×4, first 2 shown]
	v_add_f64 v[52:53], v[56:57], v[60:61]
	v_fma_f64 v[54:55], v[52:53], -0.5, v[16:17]
	v_add_f64 v[52:53], v[58:59], v[62:63]
	v_add_f64 v[16:17], v[16:17], v[56:57]
	v_fma_f64 v[68:69], v[52:53], -0.5, v[18:19]
	v_add_f64 v[18:19], v[18:19], v[58:59]
	v_add_f64 v[58:59], v[58:59], -v[62:63]
	v_add_f64 v[16:17], v[16:17], v[60:61]
	v_add_f64 v[60:61], v[56:57], -v[60:61]
	v_add_f64 v[18:19], v[18:19], v[62:63]
	v_fma_f64 v[52:53], v[58:59], s[0:1], v[54:55]
	v_fma_f64 v[56:57], v[58:59], s[4:5], v[54:55]
	;; [unrolled: 1-line block ×4, first 2 shown]
	v_mov_b32_e32 v60, 0x75
	v_mul_u32_u24_sdwa v61, v71, v60 dst_sel:DWORD dst_unused:UNUSED_PAD src0_sel:WORD_0 src1_sel:DWORD
	v_add_lshl_u32 v61, v61, v74, 4
	ds_write_b128 v61, v[0:3]
	ds_write_b128 v61, v[8:11] offset:624
	v_mul_u32_u24_sdwa v0, v73, v60 dst_sel:DWORD dst_unused:UNUSED_PAD src0_sel:WORD_0 src1_sel:DWORD
	buffer_store_dword v61, off, s[48:51], 0 offset:732 ; 4-byte Folded Spill
	ds_write_b128 v61, v[12:15] offset:1248
	v_mad_u16 v1, 0x75, v70, v79
	v_add_lshl_u32 v0, v0, v75, 4
	ds_write_b128 v0, v[4:7]
	ds_write_b128 v0, v[20:23] offset:624
	buffer_store_dword v0, off, s[48:51], 0 offset:724 ; 4-byte Folded Spill
	ds_write_b128 v0, v[24:27] offset:1248
	v_mad_u16 v0, 0x75, v72, v76
	v_lshlrev_b32_sdwa v1, v65, v1 dst_sel:DWORD dst_unused:UNUSED_PAD src0_sel:DWORD src1_sel:WORD_0
	v_lshlrev_b32_sdwa v0, v65, v0 dst_sel:DWORD dst_unused:UNUSED_PAD src0_sel:DWORD src1_sel:WORD_0
	ds_write_b128 v0, v[28:31]
	ds_write_b128 v0, v[36:39] offset:624
	buffer_store_dword v0, off, s[48:51], 0 offset:716 ; 4-byte Folded Spill
	ds_write_b128 v0, v[40:43] offset:1248
	v_mad_u16 v0, 0x75, v77, v78
	v_lshlrev_b32_sdwa v2, v65, v0 dst_sel:DWORD dst_unused:UNUSED_PAD src0_sel:DWORD src1_sel:WORD_0
	v_lshlrev_b32_e32 v0, 5, v193
	ds_write_b128 v2, v[32:35]
	ds_write_b128 v2, v[44:47] offset:624
	buffer_store_dword v2, off, s[48:51], 0 offset:712 ; 4-byte Folded Spill
	ds_write_b128 v2, v[48:51] offset:1248
	ds_write_b128 v1, v[16:19]
	ds_write_b128 v1, v[52:55] offset:624
	buffer_store_dword v1, off, s[48:51], 0 offset:708 ; 4-byte Folded Spill
	ds_write_b128 v1, v[56:59] offset:1248
	s_waitcnt lgkmcnt(0)
	s_waitcnt_vscnt null, 0x0
	s_barrier
	buffer_gl0_inv
	s_clause 0x1
	global_load_dwordx4 v[100:103], v0, s[2:3] offset:1664
	global_load_dwordx4 v[172:175], v0, s[2:3] offset:1680
	ds_read_b128 v[0:3], v192 offset:9360
	ds_read_b128 v[4:7], v192 offset:7488
	;; [unrolled: 1-line block ×3, first 2 shown]
	v_mov_b32_e32 v34, 0x8c09
	s_waitcnt vmcnt(1) lgkmcnt(2)
	v_mul_f64 v[12:13], v[2:3], v[102:103]
	v_mul_f64 v[14:15], v[0:1], v[102:103]
	v_fma_f64 v[16:17], v[0:1], v[100:101], -v[12:13]
	v_fma_f64 v[18:19], v[2:3], v[100:101], v[14:15]
	ds_read_b128 v[0:3], v192 offset:20592
	s_waitcnt vmcnt(0) lgkmcnt(1)
	v_mul_f64 v[12:13], v[10:11], v[174:175]
	v_fma_f64 v[20:21], v[8:9], v[172:173], -v[12:13]
	v_mul_f64 v[8:9], v[8:9], v[174:175]
	v_fma_f64 v[22:23], v[10:11], v[172:173], v[8:9]
	ds_read_b128 v[8:11], v192 offset:11232
	ds_read_b128 v[12:15], v192 offset:13104
	s_waitcnt lgkmcnt(1)
	v_mul_f64 v[24:25], v[10:11], v[102:103]
	v_fma_f64 v[24:25], v[8:9], v[100:101], -v[24:25]
	v_mul_f64 v[8:9], v[8:9], v[102:103]
	v_fma_f64 v[26:27], v[10:11], v[100:101], v[8:9]
	v_mul_f64 v[8:9], v[2:3], v[174:175]
	v_fma_f64 v[28:29], v[0:1], v[172:173], -v[8:9]
	v_mul_f64 v[0:1], v[0:1], v[174:175]
	v_fma_f64 v[30:31], v[2:3], v[172:173], v[0:1]
	v_mul_u32_u24_sdwa v0, v204, v34 dst_sel:DWORD dst_unused:UNUSED_PAD src0_sel:WORD_0 src1_sel:DWORD
	v_lshrrev_b32_e32 v0, 22, v0
	v_mul_lo_u16 v0, 0x75, v0
	v_sub_nc_u16 v68, v204, v0
	v_lshlrev_b16 v0, 5, v68
	v_and_b32_e32 v0, 0xffff, v0
	v_add_co_u32 v0, s12, s2, v0
	v_add_co_ci_u32_e64 v1, null, s3, 0, s12
	s_clause 0x1
	global_load_dwordx4 v[228:231], v[0:1], off offset:1664
	global_load_dwordx4 v[224:227], v[0:1], off offset:1680
	s_waitcnt vmcnt(1) lgkmcnt(0)
	v_mul_f64 v[0:1], v[14:15], v[230:231]
	v_fma_f64 v[36:37], v[12:13], v[228:229], -v[0:1]
	v_mul_f64 v[0:1], v[12:13], v[230:231]
	v_fma_f64 v[38:39], v[14:15], v[228:229], v[0:1]
	ds_read_b128 v[0:3], v192 offset:22464
	ds_read_b128 v[8:11], v192 offset:24336
	s_waitcnt vmcnt(0) lgkmcnt(1)
	v_mul_f64 v[12:13], v[2:3], v[226:227]
	v_fma_f64 v[40:41], v[0:1], v[224:225], -v[12:13]
	v_mul_f64 v[0:1], v[0:1], v[226:227]
	v_add_f64 v[60:61], v[36:37], v[40:41]
	v_fma_f64 v[42:43], v[2:3], v[224:225], v[0:1]
	v_mul_u32_u24_sdwa v0, v66, v34 dst_sel:DWORD dst_unused:UNUSED_PAD src0_sel:WORD_0 src1_sel:DWORD
	v_lshrrev_b32_e32 v0, 22, v0
	v_mul_lo_u16 v0, 0x75, v0
	v_sub_nc_u16 v66, v66, v0
	v_lshlrev_b16 v0, 5, v66
	v_add_f64 v[62:63], v[38:39], v[42:43]
	v_and_b32_e32 v0, 0xffff, v0
	v_add_co_u32 v0, s12, s2, v0
	v_add_co_ci_u32_e64 v1, null, s3, 0, s12
	s_clause 0x1
	global_load_dwordx4 v[236:239], v[0:1], off offset:1664
	global_load_dwordx4 v[232:235], v[0:1], off offset:1680
	ds_read_b128 v[0:3], v192 offset:14976
	ds_read_b128 v[12:15], v192 offset:16848
	s_waitcnt vmcnt(1) lgkmcnt(1)
	v_mul_f64 v[32:33], v[2:3], v[238:239]
	v_fma_f64 v[44:45], v[0:1], v[236:237], -v[32:33]
	v_mul_f64 v[0:1], v[0:1], v[238:239]
	v_fma_f64 v[46:47], v[2:3], v[236:237], v[0:1]
	s_waitcnt vmcnt(0)
	v_mul_f64 v[0:1], v[10:11], v[234:235]
	v_fma_f64 v[48:49], v[8:9], v[232:233], -v[0:1]
	v_mul_f64 v[0:1], v[8:9], v[234:235]
	v_fma_f64 v[50:51], v[10:11], v[232:233], v[0:1]
	v_mul_u32_u24_sdwa v0, v67, v34 dst_sel:DWORD dst_unused:UNUSED_PAD src0_sel:WORD_0 src1_sel:DWORD
	v_lshrrev_b32_e32 v0, 22, v0
	v_mul_lo_u16 v0, 0x75, v0
	v_sub_nc_u16 v67, v67, v0
	v_lshlrev_b16 v0, 5, v67
	v_and_b32_e32 v0, 0xffff, v0
	v_add_co_u32 v0, s12, s2, v0
	v_add_co_ci_u32_e64 v1, null, s3, 0, s12
	s_clause 0x1
	global_load_dwordx4 v[244:247], v[0:1], off offset:1664
	global_load_dwordx4 v[240:243], v[0:1], off offset:1680
	s_waitcnt vmcnt(1) lgkmcnt(0)
	v_mul_f64 v[0:1], v[14:15], v[246:247]
	v_fma_f64 v[52:53], v[12:13], v[244:245], -v[0:1]
	v_mul_f64 v[0:1], v[12:13], v[246:247]
	v_add_f64 v[12:13], v[16:17], v[20:21]
	v_fma_f64 v[54:55], v[14:15], v[244:245], v[0:1]
	ds_read_b128 v[0:3], v192 offset:26208
	s_waitcnt vmcnt(0) lgkmcnt(0)
	v_mul_f64 v[8:9], v[2:3], v[242:243]
	v_fma_f64 v[56:57], v[0:1], v[240:241], -v[8:9]
	v_mul_f64 v[0:1], v[0:1], v[242:243]
	v_fma_f64 v[58:59], v[2:3], v[240:241], v[0:1]
	ds_read_b128 v[0:3], v192
	ds_read_b128 v[8:11], v192 offset:1872
	s_waitcnt lgkmcnt(1)
	v_fma_f64 v[14:15], v[12:13], -0.5, v[0:1]
	v_add_f64 v[12:13], v[18:19], v[22:23]
	v_add_f64 v[0:1], v[0:1], v[16:17]
	v_fma_f64 v[32:33], v[12:13], -0.5, v[2:3]
	v_add_f64 v[2:3], v[2:3], v[18:19]
	v_add_f64 v[18:19], v[18:19], -v[22:23]
	v_add_f64 v[0:1], v[0:1], v[20:21]
	v_add_f64 v[20:21], v[16:17], -v[20:21]
	v_add_f64 v[2:3], v[2:3], v[22:23]
	v_fma_f64 v[12:13], v[18:19], s[0:1], v[14:15]
	v_fma_f64 v[16:17], v[18:19], s[4:5], v[14:15]
	;; [unrolled: 1-line block ×4, first 2 shown]
	v_add_f64 v[20:21], v[24:25], v[28:29]
	s_waitcnt lgkmcnt(0)
	v_fma_f64 v[22:23], v[20:21], -0.5, v[8:9]
	v_add_f64 v[20:21], v[26:27], v[30:31]
	v_add_f64 v[8:9], v[8:9], v[24:25]
	v_fma_f64 v[32:33], v[20:21], -0.5, v[10:11]
	v_add_f64 v[10:11], v[10:11], v[26:27]
	v_add_f64 v[26:27], v[26:27], -v[30:31]
	v_add_f64 v[8:9], v[8:9], v[28:29]
	v_add_f64 v[28:29], v[24:25], -v[28:29]
	v_add_f64 v[10:11], v[10:11], v[30:31]
	v_fma_f64 v[20:21], v[26:27], s[0:1], v[22:23]
	v_fma_f64 v[24:25], v[26:27], s[4:5], v[22:23]
	;; [unrolled: 1-line block ×4, first 2 shown]
	ds_read_b128 v[28:31], v192 offset:3744
	ds_read_b128 v[32:35], v192 offset:5616
	s_waitcnt lgkmcnt(0)
	s_barrier
	buffer_gl0_inv
	ds_write_b128 v192, v[0:3]
	ds_write_b128 v192, v[8:11] offset:5616
	ds_write_b128 v192, v[12:15] offset:1872
	;; [unrolled: 1-line block ×5, first 2 shown]
	v_lshlrev_b32_sdwa v0, v65, v68 dst_sel:DWORD dst_unused:UNUSED_PAD src0_sel:DWORD src1_sel:WORD_0
	v_fma_f64 v[62:63], v[62:63], -0.5, v[30:31]
	v_add_f64 v[30:31], v[30:31], v[38:39]
	v_fma_f64 v[60:61], v[60:61], -0.5, v[28:29]
	v_add_f64 v[28:29], v[28:29], v[36:37]
	v_add_f64 v[38:39], v[38:39], -v[42:43]
	v_add_f64 v[30:31], v[30:31], v[42:43]
	v_add_f64 v[42:43], v[36:37], -v[40:41]
	v_add_f64 v[28:29], v[28:29], v[40:41]
	v_fma_f64 v[36:37], v[38:39], s[0:1], v[60:61]
	v_fma_f64 v[40:41], v[38:39], s[4:5], v[60:61]
	v_add_f64 v[60:61], v[44:45], v[48:49]
	v_fma_f64 v[38:39], v[42:43], s[4:5], v[62:63]
	v_fma_f64 v[42:43], v[42:43], s[0:1], v[62:63]
	v_add_f64 v[62:63], v[46:47], v[50:51]
	ds_write_b128 v0, v[28:31] offset:11232
	ds_write_b128 v0, v[36:39] offset:13104
	v_fma_f64 v[60:61], v[60:61], -0.5, v[32:33]
	v_add_f64 v[32:33], v[32:33], v[44:45]
	v_fma_f64 v[62:63], v[62:63], -0.5, v[34:35]
	v_add_f64 v[34:35], v[34:35], v[46:47]
	v_add_f64 v[46:47], v[46:47], -v[50:51]
	buffer_store_dword v0, off, s[48:51], 0 offset:736 ; 4-byte Folded Spill
	ds_write_b128 v0, v[40:43] offset:14976
	v_lshlrev_b32_sdwa v0, v65, v66 dst_sel:DWORD dst_unused:UNUSED_PAD src0_sel:DWORD src1_sel:WORD_0
	v_add_f64 v[32:33], v[32:33], v[48:49]
	v_add_f64 v[34:35], v[34:35], v[50:51]
	v_add_f64 v[50:51], v[44:45], -v[48:49]
	v_fma_f64 v[44:45], v[46:47], s[0:1], v[60:61]
	v_fma_f64 v[48:49], v[46:47], s[4:5], v[60:61]
	v_add_f64 v[60:61], v[52:53], v[56:57]
	v_fma_f64 v[46:47], v[50:51], s[4:5], v[62:63]
	v_fma_f64 v[50:51], v[50:51], s[0:1], v[62:63]
	v_add_f64 v[62:63], v[54:55], v[58:59]
	v_fma_f64 v[60:61], v[60:61], -0.5, v[4:5]
	v_add_f64 v[4:5], v[4:5], v[52:53]
	ds_write_b128 v0, v[32:35] offset:16848
	ds_write_b128 v0, v[44:47] offset:18720
	buffer_store_dword v0, off, s[48:51], 0 offset:728 ; 4-byte Folded Spill
	ds_write_b128 v0, v[48:51] offset:20592
	v_fma_f64 v[62:63], v[62:63], -0.5, v[6:7]
	v_add_f64 v[6:7], v[6:7], v[54:55]
	v_add_f64 v[54:55], v[54:55], -v[58:59]
	v_add_f64 v[4:5], v[4:5], v[56:57]
	v_lshlrev_b32_sdwa v0, v65, v67 dst_sel:DWORD dst_unused:UNUSED_PAD src0_sel:DWORD src1_sel:WORD_0
	v_add_f64 v[6:7], v[6:7], v[58:59]
	v_add_f64 v[58:59], v[52:53], -v[56:57]
	v_fma_f64 v[52:53], v[54:55], s[0:1], v[60:61]
	v_fma_f64 v[56:57], v[54:55], s[4:5], v[60:61]
	;; [unrolled: 1-line block ×4, first 2 shown]
	ds_write_b128 v0, v[4:7] offset:22464
	ds_write_b128 v0, v[52:55] offset:24336
	buffer_store_dword v0, off, s[48:51], 0 offset:720 ; 4-byte Folded Spill
	ds_write_b128 v0, v[56:59] offset:26208
	v_lshlrev_b32_e32 v0, 6, v193
	buffer_store_dword v193, off, s[48:51], 0 offset:704 ; 4-byte Folded Spill
	s_waitcnt lgkmcnt(0)
	s_waitcnt_vscnt null, 0x0
	s_barrier
	buffer_gl0_inv
	v_add_co_u32 v2, s0, s2, v0
	v_add_co_ci_u32_e64 v3, null, s3, 0, s0
	ds_read_b128 v[6:9], v192 offset:3744
	v_add_co_u32 v0, s0, 0x1000, v2
	v_add_co_ci_u32_e64 v1, s0, 0, v3, s0
	v_add_co_u32 v4, s0, 0x1520, v2
	v_add_co_ci_u32_e64 v5, s0, 0, v3, s0
	global_load_dwordx4 v[12:15], v[0:1], off offset:1312
	s_mov_b32 s4, 0x134454ff
	s_mov_b32 s5, 0x3fee6f0e
	global_load_dwordx4 v[38:41], v[4:5], off offset:48
	ds_read_b128 v[0:3], v192 offset:5616
	s_mov_b32 s12, s4
	s_waitcnt vmcnt(1) lgkmcnt(0)
	v_mul_f64 v[10:11], v[2:3], v[14:15]
	v_fma_f64 v[26:27], v[0:1], v[12:13], -v[10:11]
	v_mul_f64 v[0:1], v[0:1], v[14:15]
	buffer_store_dword v12, off, s[48:51], 0 offset:496 ; 4-byte Folded Spill
	buffer_store_dword v13, off, s[48:51], 0 offset:500 ; 4-byte Folded Spill
	;; [unrolled: 1-line block ×4, first 2 shown]
	s_clause 0x1
	global_load_dwordx4 v[252:255], v[4:5], off offset:16
	global_load_dwordx4 v[248:251], v[4:5], off offset:32
	v_fma_f64 v[28:29], v[2:3], v[12:13], v[0:1]
	ds_read_b128 v[0:3], v192 offset:11232
	ds_read_b128 v[10:13], v192 offset:13104
	s_waitcnt vmcnt(1) lgkmcnt(1)
	v_mul_f64 v[4:5], v[2:3], v[254:255]
	v_fma_f64 v[4:5], v[0:1], v[252:253], -v[4:5]
	v_mul_f64 v[0:1], v[0:1], v[254:255]
	v_fma_f64 v[30:31], v[2:3], v[252:253], v[0:1]
	ds_read_b128 v[0:3], v192 offset:16848
	ds_read_b128 v[14:17], v192 offset:14976
	s_waitcnt vmcnt(0) lgkmcnt(1)
	v_mul_f64 v[18:19], v[2:3], v[250:251]
	v_fma_f64 v[32:33], v[0:1], v[248:249], -v[18:19]
	v_mul_f64 v[0:1], v[0:1], v[250:251]
	v_add_f64 v[82:83], v[4:5], -v[32:33]
	v_fma_f64 v[34:35], v[2:3], v[248:249], v[0:1]
	ds_read_b128 v[0:3], v192 offset:22464
	ds_read_b128 v[18:21], v192 offset:24336
	s_waitcnt lgkmcnt(1)
	v_mul_f64 v[22:23], v[2:3], v[40:41]
	v_add_f64 v[78:79], v[30:31], -v[34:35]
	v_fma_f64 v[36:37], v[0:1], v[38:39], -v[22:23]
	v_mul_f64 v[0:1], v[0:1], v[40:41]
	buffer_store_dword v38, off, s[48:51], 0 offset:592 ; 4-byte Folded Spill
	buffer_store_dword v39, off, s[48:51], 0 offset:596 ; 4-byte Folded Spill
	;; [unrolled: 1-line block ×4, first 2 shown]
	ds_read_b128 v[22:25], v192 offset:9360
	v_add_f64 v[80:81], v[26:27], -v[36:37]
	v_fma_f64 v[38:39], v[2:3], v[38:39], v[0:1]
	v_lshlrev_b32_e32 v0, 6, v64
	v_add_co_u32 v2, s0, s2, v0
	v_add_co_ci_u32_e64 v3, null, s3, 0, s0
	v_add_co_u32 v0, s0, 0x1000, v2
	v_add_co_ci_u32_e64 v1, s0, 0, v3, s0
	v_add_co_u32 v40, s0, 0x1520, v2
	v_add_co_ci_u32_e64 v41, s0, 0, v3, s0
	s_clause 0x1
	global_load_dwordx4 v[200:203], v[0:1], off offset:1312
	global_load_dwordx4 v[64:67], v[40:41], off offset:48
	ds_read_b128 v[0:3], v192 offset:7488
	s_clause 0x1
	global_load_dwordx4 v[208:211], v[40:41], off offset:16
	global_load_dwordx4 v[196:199], v[40:41], off offset:32
	s_waitcnt vmcnt(3) lgkmcnt(0)
	v_mul_f64 v[42:43], v[2:3], v[202:203]
	v_fma_f64 v[42:43], v[0:1], v[200:201], -v[42:43]
	v_mul_f64 v[0:1], v[0:1], v[202:203]
	v_fma_f64 v[44:45], v[2:3], v[200:201], v[0:1]
	s_waitcnt vmcnt(1)
	v_mul_f64 v[0:1], v[12:13], v[210:211]
	v_fma_f64 v[46:47], v[10:11], v[208:209], -v[0:1]
	v_mul_f64 v[0:1], v[10:11], v[210:211]
	v_fma_f64 v[48:49], v[12:13], v[208:209], v[0:1]
	ds_read_b128 v[0:3], v192 offset:18720
	ds_read_b128 v[10:13], v192 offset:20592
	s_waitcnt vmcnt(0) lgkmcnt(1)
	v_mul_f64 v[40:41], v[2:3], v[198:199]
	v_fma_f64 v[50:51], v[0:1], v[196:197], -v[40:41]
	v_mul_f64 v[0:1], v[0:1], v[198:199]
	v_add_f64 v[40:41], v[28:29], -v[38:39]
	v_fma_f64 v[52:53], v[2:3], v[196:197], v[0:1]
	v_mul_f64 v[0:1], v[20:21], v[66:67]
	v_fma_f64 v[54:55], v[18:19], v[64:65], -v[0:1]
	v_mul_f64 v[0:1], v[18:19], v[66:67]
	v_fma_f64 v[56:57], v[20:21], v[64:65], v[0:1]
	v_lshlrev_b32_e32 v0, 6, v204
	v_add_co_u32 v2, s0, s2, v0
	v_add_co_ci_u32_e64 v3, null, s3, 0, s0
	s_mov_b32 s3, 0xbfe2cf23
	v_add_co_u32 v0, s0, 0x1000, v2
	v_add_co_ci_u32_e64 v1, s0, 0, v3, s0
	v_add_co_u32 v2, s0, 0x1520, v2
	v_add_co_ci_u32_e64 v3, s0, 0, v3, s0
	s_clause 0x3
	global_load_dwordx4 v[216:219], v[0:1], off offset:1312
	global_load_dwordx4 v[204:207], v[2:3], off offset:48
	;; [unrolled: 1-line block ×4, first 2 shown]
	s_mov_b32 s0, 0x4755a5e
	s_mov_b32 s1, 0x3fe2cf23
	;; [unrolled: 1-line block ×3, first 2 shown]
	s_waitcnt vmcnt(3)
	v_mul_f64 v[0:1], v[24:25], v[218:219]
	v_fma_f64 v[58:59], v[22:23], v[216:217], -v[0:1]
	v_mul_f64 v[0:1], v[22:23], v[218:219]
	v_fma_f64 v[60:61], v[24:25], v[216:217], v[0:1]
	s_waitcnt vmcnt(1)
	v_mul_f64 v[0:1], v[16:17], v[222:223]
	v_fma_f64 v[62:63], v[14:15], v[220:221], -v[0:1]
	v_mul_f64 v[0:1], v[14:15], v[222:223]
	v_add_f64 v[14:15], v[4:5], v[32:33]
	v_fma_f64 v[68:69], v[16:17], v[220:221], v[0:1]
	s_waitcnt vmcnt(0) lgkmcnt(0)
	v_mul_f64 v[0:1], v[12:13], v[214:215]
	v_fma_f64 v[70:71], v[10:11], v[212:213], -v[0:1]
	v_mul_f64 v[0:1], v[10:11], v[214:215]
	v_fma_f64 v[72:73], v[12:13], v[212:213], v[0:1]
	ds_read_b128 v[0:3], v192 offset:26208
	s_waitcnt lgkmcnt(0)
	v_mul_f64 v[10:11], v[2:3], v[206:207]
	v_fma_f64 v[74:75], v[0:1], v[204:205], -v[10:11]
	v_mul_f64 v[0:1], v[0:1], v[206:207]
	v_fma_f64 v[76:77], v[2:3], v[204:205], v[0:1]
	v_add_f64 v[0:1], v[26:27], -v[4:5]
	v_add_f64 v[2:3], v[36:37], -v[32:33]
	v_add_f64 v[18:19], v[0:1], v[2:3]
	v_add_f64 v[0:1], v[28:29], -v[30:31]
	v_add_f64 v[2:3], v[38:39], -v[34:35]
	v_add_f64 v[20:21], v[0:1], v[2:3]
	ds_read_b128 v[0:3], v192
	ds_read_b128 v[10:13], v192 offset:1872
	s_waitcnt lgkmcnt(1)
	v_fma_f64 v[22:23], v[14:15], -0.5, v[0:1]
	v_add_f64 v[14:15], v[30:31], v[34:35]
	v_fma_f64 v[24:25], v[14:15], -0.5, v[2:3]
	v_fma_f64 v[14:15], v[40:41], s[4:5], v[22:23]
	v_fma_f64 v[22:23], v[40:41], s[12:13], v[22:23]
	;; [unrolled: 1-line block ×9, first 2 shown]
	v_add_f64 v[22:23], v[26:27], v[36:37]
	v_fma_f64 v[24:25], v[82:83], s[0:1], v[24:25]
	v_fma_f64 v[16:17], v[20:21], s[14:15], v[16:17]
	v_fma_f64 v[86:87], v[22:23], -0.5, v[0:1]
	v_add_f64 v[22:23], v[28:29], v[38:39]
	v_add_f64 v[0:1], v[0:1], v[26:27]
	v_fma_f64 v[20:21], v[20:21], s[14:15], v[24:25]
	v_add_f64 v[26:27], v[4:5], -v[26:27]
	v_fma_f64 v[88:89], v[22:23], -0.5, v[2:3]
	v_add_f64 v[2:3], v[2:3], v[28:29]
	v_add_f64 v[0:1], v[0:1], v[4:5]
	v_add_f64 v[4:5], v[30:31], -v[28:29]
	v_add_f64 v[28:29], v[32:33], -v[36:37]
	v_add_f64 v[2:3], v[2:3], v[30:31]
	v_add_f64 v[0:1], v[0:1], v[32:33]
	v_fma_f64 v[32:33], v[82:83], s[4:5], v[88:89]
	v_fma_f64 v[30:31], v[78:79], s[4:5], v[86:87]
	v_add_f64 v[2:3], v[2:3], v[34:35]
	v_add_f64 v[22:23], v[0:1], v[36:37]
	v_add_f64 v[0:1], v[34:35], -v[38:39]
	v_fma_f64 v[34:35], v[82:83], s[12:13], v[88:89]
	v_add_f64 v[36:37], v[26:27], v[28:29]
	v_fma_f64 v[28:29], v[80:81], s[2:3], v[32:33]
	v_add_f64 v[82:83], v[42:43], -v[54:55]
	v_add_f64 v[24:25], v[2:3], v[38:39]
	v_fma_f64 v[2:3], v[78:79], s[12:13], v[86:87]
	v_add_f64 v[0:1], v[4:5], v[0:1]
	v_fma_f64 v[32:33], v[80:81], s[0:1], v[34:35]
	v_fma_f64 v[4:5], v[40:41], s[2:3], v[30:31]
	v_add_f64 v[34:35], v[48:49], v[52:53]
	v_add_f64 v[78:79], v[44:45], -v[56:57]
	v_add_f64 v[80:81], v[48:49], -v[52:53]
	v_add_f64 v[86:87], v[46:47], -v[50:51]
	v_fma_f64 v[2:3], v[40:41], s[0:1], v[2:3]
	v_fma_f64 v[28:29], v[0:1], s[14:15], v[28:29]
	;; [unrolled: 1-line block ×3, first 2 shown]
	v_add_f64 v[0:1], v[42:43], -v[46:47]
	v_fma_f64 v[30:31], v[36:37], s[14:15], v[4:5]
	v_add_f64 v[4:5], v[56:57], -v[52:53]
	s_waitcnt lgkmcnt(0)
	v_fma_f64 v[38:39], v[34:35], -0.5, v[12:13]
	v_fma_f64 v[26:27], v[36:37], s[14:15], v[2:3]
	v_add_f64 v[2:3], v[54:55], -v[50:51]
	v_fma_f64 v[36:37], v[82:83], s[12:13], v[38:39]
	v_fma_f64 v[38:39], v[82:83], s[4:5], v[38:39]
	v_add_f64 v[0:1], v[0:1], v[2:3]
	v_add_f64 v[2:3], v[44:45], -v[48:49]
	v_fma_f64 v[36:37], v[86:87], s[2:3], v[36:37]
	v_fma_f64 v[40:41], v[86:87], s[0:1], v[38:39]
	v_add_f64 v[2:3], v[2:3], v[4:5]
	v_add_f64 v[4:5], v[46:47], v[50:51]
	v_fma_f64 v[36:37], v[2:3], s[14:15], v[36:37]
	v_fma_f64 v[4:5], v[4:5], -0.5, v[10:11]
	v_fma_f64 v[40:41], v[2:3], s[14:15], v[40:41]
	v_add_f64 v[2:3], v[44:45], v[56:57]
	v_fma_f64 v[34:35], v[78:79], s[4:5], v[4:5]
	v_fma_f64 v[4:5], v[78:79], s[12:13], v[4:5]
	v_fma_f64 v[2:3], v[2:3], -0.5, v[12:13]
	v_fma_f64 v[34:35], v[80:81], s[0:1], v[34:35]
	v_fma_f64 v[4:5], v[80:81], s[2:3], v[4:5]
	;; [unrolled: 1-line block ×4, first 2 shown]
	v_add_f64 v[0:1], v[42:43], v[54:55]
	v_add_f64 v[4:5], v[10:11], v[42:43]
	v_add_f64 v[42:43], v[46:47], -v[42:43]
	v_fma_f64 v[0:1], v[0:1], -0.5, v[10:11]
	v_add_f64 v[10:11], v[12:13], v[44:45]
	v_add_f64 v[4:5], v[4:5], v[46:47]
	v_add_f64 v[44:45], v[48:49], -v[44:45]
	v_add_f64 v[46:47], v[50:51], -v[54:55]
	v_add_f64 v[10:11], v[10:11], v[48:49]
	v_add_f64 v[4:5], v[4:5], v[50:51]
	v_fma_f64 v[48:49], v[80:81], s[12:13], v[0:1]
	v_fma_f64 v[0:1], v[80:81], s[4:5], v[0:1]
	;; [unrolled: 1-line block ×4, first 2 shown]
	v_add_f64 v[46:47], v[42:43], v[46:47]
	v_add_f64 v[80:81], v[60:61], -v[76:77]
	v_add_f64 v[86:87], v[58:59], -v[74:75]
	v_add_f64 v[12:13], v[10:11], v[52:53]
	v_add_f64 v[10:11], v[4:5], v[54:55]
	v_add_f64 v[4:5], v[52:53], -v[56:57]
	v_fma_f64 v[42:43], v[78:79], s[0:1], v[48:49]
	v_fma_f64 v[0:1], v[78:79], s[2:3], v[0:1]
	;; [unrolled: 1-line block ×3, first 2 shown]
	v_add_f64 v[78:79], v[68:69], -v[72:73]
	v_add_f64 v[12:13], v[12:13], v[56:57]
	v_add_f64 v[4:5], v[44:45], v[4:5]
	v_fma_f64 v[44:45], v[82:83], s[2:3], v[50:51]
	v_fma_f64 v[42:43], v[46:47], s[14:15], v[42:43]
	;; [unrolled: 1-line block ×3, first 2 shown]
	v_add_f64 v[0:1], v[62:63], -v[58:59]
	v_add_f64 v[50:51], v[60:61], v[76:77]
	v_add_f64 v[82:83], v[62:63], -v[70:71]
	v_fma_f64 v[48:49], v[4:5], s[14:15], v[2:3]
	v_add_f64 v[2:3], v[70:71], -v[74:75]
	v_fma_f64 v[44:45], v[4:5], s[14:15], v[44:45]
	v_add_f64 v[4:5], v[72:73], -v[76:77]
	v_fma_f64 v[54:55], v[50:51], -0.5, v[8:9]
	v_add_f64 v[0:1], v[0:1], v[2:3]
	v_add_f64 v[2:3], v[68:69], -v[60:61]
	v_fma_f64 v[52:53], v[82:83], s[4:5], v[54:55]
	v_fma_f64 v[54:55], v[82:83], s[12:13], v[54:55]
	v_add_f64 v[2:3], v[2:3], v[4:5]
	v_add_f64 v[4:5], v[58:59], v[74:75]
	v_fma_f64 v[52:53], v[86:87], s[2:3], v[52:53]
	v_fma_f64 v[54:55], v[86:87], s[0:1], v[54:55]
	v_fma_f64 v[4:5], v[4:5], -0.5, v[6:7]
	v_fma_f64 v[52:53], v[2:3], s[14:15], v[52:53]
	v_fma_f64 v[2:3], v[2:3], s[14:15], v[54:55]
	v_add_f64 v[54:55], v[68:69], v[72:73]
	v_fma_f64 v[50:51], v[78:79], s[12:13], v[4:5]
	v_fma_f64 v[4:5], v[78:79], s[4:5], v[4:5]
	v_fma_f64 v[88:89], v[54:55], -0.5, v[8:9]
	v_add_f64 v[8:9], v[8:9], v[60:61]
	v_add_f64 v[60:61], v[60:61], -v[68:69]
	v_fma_f64 v[50:51], v[80:81], s[0:1], v[50:51]
	v_fma_f64 v[4:5], v[80:81], s[2:3], v[4:5]
	v_add_f64 v[8:9], v[8:9], v[68:69]
	v_fma_f64 v[68:69], v[86:87], s[12:13], v[88:89]
	v_fma_f64 v[50:51], v[0:1], s[14:15], v[50:51]
	;; [unrolled: 1-line block ×3, first 2 shown]
	v_add_f64 v[4:5], v[62:63], v[70:71]
	v_add_f64 v[8:9], v[8:9], v[72:73]
	v_fma_f64 v[4:5], v[4:5], -0.5, v[6:7]
	v_add_f64 v[6:7], v[6:7], v[58:59]
	v_add_f64 v[58:59], v[58:59], -v[62:63]
	v_add_f64 v[56:57], v[8:9], v[76:77]
	v_fma_f64 v[8:9], v[80:81], s[4:5], v[4:5]
	v_add_f64 v[6:7], v[6:7], v[62:63]
	v_add_f64 v[62:63], v[74:75], -v[70:71]
	v_fma_f64 v[4:5], v[80:81], s[12:13], v[4:5]
	v_fma_f64 v[8:9], v[78:79], s[0:1], v[8:9]
	v_add_f64 v[6:7], v[6:7], v[70:71]
	v_fma_f64 v[70:71], v[86:87], s[4:5], v[88:89]
	v_add_f64 v[58:59], v[58:59], v[62:63]
	;; [unrolled: 2-line block ×3, first 2 shown]
	v_add_f64 v[6:7], v[76:77], -v[72:73]
	v_fma_f64 v[62:63], v[82:83], s[0:1], v[70:71]
	v_fma_f64 v[4:5], v[58:59], s[14:15], v[4:5]
	v_add_f64 v[6:7], v[60:61], v[6:7]
	v_fma_f64 v[60:61], v[82:83], s[2:3], v[68:69]
	v_fma_f64 v[68:69], v[58:59], s[14:15], v[8:9]
	v_add_co_u32 v8, s0, 0x6800, v84
	v_add_co_ci_u32_e64 v9, s0, 0, v85, s0
	v_fma_f64 v[70:71], v[6:7], s[14:15], v[60:61]
	v_fma_f64 v[6:7], v[6:7], s[14:15], v[62:63]
	ds_write_b128 v192, v[22:25]
	ds_write_b128 v192, v[10:13] offset:1872
	ds_write_b128 v192, v[54:57] offset:3744
	;; [unrolled: 1-line block ×14, first 2 shown]
	s_waitcnt lgkmcnt(0)
	s_waitcnt_vscnt null, 0x0
	s_barrier
	buffer_gl0_inv
	buffer_store_dword v8, off, s[48:51], 0 offset:752 ; 4-byte Folded Spill
	buffer_store_dword v9, off, s[48:51], 0 offset:756 ; 4-byte Folded Spill
	global_load_dwordx4 v[8:11], v[8:9], off offset:1456
	ds_read_b128 v[12:15], v192
	ds_read_b128 v[16:19], v192 offset:2160
	s_waitcnt vmcnt(0) lgkmcnt(1)
	v_mul_f64 v[20:21], v[14:15], v[10:11]
	v_mul_f64 v[22:23], v[12:13], v[10:11]
	v_fma_f64 v[10:11], v[12:13], v[8:9], -v[20:21]
	v_fma_f64 v[12:13], v[14:15], v[8:9], v[22:23]
	v_add_co_u32 v8, s0, 0x7000, v84
	v_add_co_ci_u32_e64 v9, s0, 0, v85, s0
	v_add_co_u32 v14, s0, 0x7800, v84
	v_add_co_ci_u32_e64 v15, s0, 0, v85, s0
	s_clause 0x1
	global_load_dwordx4 v[20:23], v[8:9], off offset:1568
	global_load_dwordx4 v[24:27], v[14:15], off offset:1680
	s_waitcnt vmcnt(1) lgkmcnt(0)
	v_mul_f64 v[8:9], v[18:19], v[22:23]
	v_mul_f64 v[22:23], v[16:17], v[22:23]
	v_fma_f64 v[14:15], v[16:17], v[20:21], -v[8:9]
	v_fma_f64 v[16:17], v[18:19], v[20:21], v[22:23]
	ds_read_b128 v[18:21], v192 offset:4320
	ds_read_b128 v[28:31], v192 offset:6480
	s_waitcnt vmcnt(0) lgkmcnt(1)
	v_mul_f64 v[8:9], v[20:21], v[26:27]
	v_mul_f64 v[22:23], v[18:19], v[26:27]
	v_fma_f64 v[18:19], v[18:19], v[24:25], -v[8:9]
	v_add_co_u32 v8, s0, 0x8000, v84
	v_add_co_ci_u32_e64 v9, s0, 0, v85, s0
	v_add_co_u32 v26, s0, 0x8800, v84
	v_add_co_ci_u32_e64 v27, s0, 0, v85, s0
	v_fma_f64 v[20:21], v[20:21], v[24:25], v[22:23]
	s_clause 0x1
	global_load_dwordx4 v[22:25], v[8:9], off offset:1792
	global_load_dwordx4 v[32:35], v[26:27], off offset:1904
	s_waitcnt vmcnt(1) lgkmcnt(0)
	v_mul_f64 v[8:9], v[30:31], v[24:25]
	v_mul_f64 v[26:27], v[28:29], v[24:25]
	v_fma_f64 v[24:25], v[28:29], v[22:23], -v[8:9]
	v_fma_f64 v[26:27], v[30:31], v[22:23], v[26:27]
	ds_read_b128 v[28:31], v192 offset:8640
	ds_read_b128 v[36:39], v192 offset:10800
	s_waitcnt vmcnt(0) lgkmcnt(1)
	v_mul_f64 v[8:9], v[30:31], v[34:35]
	v_mul_f64 v[22:23], v[28:29], v[34:35]
	v_fma_f64 v[28:29], v[28:29], v[32:33], -v[8:9]
	v_add_co_u32 v8, s0, 0x9000, v84
	v_add_co_ci_u32_e64 v9, s0, 0, v85, s0
	v_fma_f64 v[30:31], v[30:31], v[32:33], v[22:23]
	v_add_co_u32 v22, s0, 0xa000, v84
	v_add_co_ci_u32_e64 v23, s0, 0, v85, s0
	s_clause 0x1
	global_load_dwordx4 v[32:35], v[8:9], off offset:2016
	global_load_dwordx4 v[40:43], v[22:23], off offset:80
	ds_read_b128 v[44:47], v192 offset:12960
	ds_read_b128 v[48:51], v192 offset:15120
	s_waitcnt vmcnt(1) lgkmcnt(2)
	v_mul_f64 v[8:9], v[38:39], v[34:35]
	v_mul_f64 v[22:23], v[36:37], v[34:35]
	v_fma_f64 v[34:35], v[36:37], v[32:33], -v[8:9]
	s_waitcnt vmcnt(0) lgkmcnt(1)
	v_mul_f64 v[8:9], v[46:47], v[42:43]
	v_fma_f64 v[36:37], v[38:39], v[32:33], v[22:23]
	v_mul_f64 v[22:23], v[44:45], v[42:43]
	v_fma_f64 v[38:39], v[44:45], v[40:41], -v[8:9]
	v_add_co_u32 v8, s0, 0xa800, v84
	v_add_co_ci_u32_e64 v9, s0, 0, v85, s0
	v_fma_f64 v[40:41], v[46:47], v[40:41], v[22:23]
	v_add_co_u32 v22, s0, 0xb000, v84
	v_add_co_ci_u32_e64 v23, s0, 0, v85, s0
	s_clause 0x1
	global_load_dwordx4 v[42:45], v[8:9], off offset:192
	global_load_dwordx4 v[52:55], v[22:23], off offset:304
	s_waitcnt vmcnt(1) lgkmcnt(0)
	v_mul_f64 v[8:9], v[50:51], v[44:45]
	v_mul_f64 v[22:23], v[48:49], v[44:45]
	v_fma_f64 v[44:45], v[48:49], v[42:43], -v[8:9]
	v_fma_f64 v[46:47], v[50:51], v[42:43], v[22:23]
	ds_read_b128 v[48:51], v192 offset:17280
	ds_read_b128 v[56:59], v192 offset:19440
	s_waitcnt vmcnt(0) lgkmcnt(1)
	v_mul_f64 v[8:9], v[50:51], v[54:55]
	v_mul_f64 v[22:23], v[48:49], v[54:55]
	v_fma_f64 v[48:49], v[48:49], v[52:53], -v[8:9]
	v_add_co_u32 v8, s0, 0xb800, v84
	v_add_co_ci_u32_e64 v9, s0, 0, v85, s0
	v_fma_f64 v[50:51], v[50:51], v[52:53], v[22:23]
	v_add_co_u32 v22, s0, 0xc000, v84
	v_add_co_ci_u32_e64 v23, s0, 0, v85, s0
	s_clause 0x1
	global_load_dwordx4 v[52:55], v[8:9], off offset:416
	global_load_dwordx4 v[68:71], v[22:23], off offset:528
	ds_read_b128 v[72:75], v192 offset:21600
	ds_read_b128 v[76:79], v192 offset:23760
	s_waitcnt vmcnt(1) lgkmcnt(2)
	v_mul_f64 v[8:9], v[58:59], v[54:55]
	v_mul_f64 v[22:23], v[56:57], v[54:55]
	v_fma_f64 v[54:55], v[56:57], v[52:53], -v[8:9]
	s_waitcnt vmcnt(0) lgkmcnt(1)
	v_mul_f64 v[8:9], v[74:75], v[70:71]
	v_fma_f64 v[56:57], v[58:59], v[52:53], v[22:23]
	v_mul_f64 v[22:23], v[72:73], v[70:71]
	v_fma_f64 v[70:71], v[72:73], v[68:69], -v[8:9]
	v_add_co_u32 v8, s0, 0xc800, v84
	v_add_co_ci_u32_e64 v9, s0, 0, v85, s0
	v_fma_f64 v[72:73], v[74:75], v[68:69], v[22:23]
	v_add_co_u32 v22, s0, 0xd000, v84
	v_add_co_ci_u32_e64 v23, s0, 0, v85, s0
	s_clause 0x1
	global_load_dwordx4 v[80:83], v[8:9], off offset:640
	global_load_dwordx4 v[58:61], v[22:23], off offset:752
	s_waitcnt vmcnt(1) lgkmcnt(0)
	v_mul_f64 v[8:9], v[78:79], v[82:83]
	v_mul_f64 v[22:23], v[76:77], v[82:83]
	v_fma_f64 v[74:75], v[76:77], v[80:81], -v[8:9]
	v_fma_f64 v[76:77], v[78:79], v[80:81], v[22:23]
	ds_read_b128 v[78:81], v192 offset:25920
	s_waitcnt vmcnt(0) lgkmcnt(0)
	v_mul_f64 v[8:9], v[80:81], v[60:61]
	v_mul_f64 v[22:23], v[78:79], v[60:61]
	v_fma_f64 v[60:61], v[78:79], v[58:59], -v[8:9]
	v_fma_f64 v[62:63], v[80:81], v[58:59], v[22:23]
	ds_write_b128 v192, v[10:13]
	ds_write_b128 v192, v[14:17] offset:2160
	ds_write_b128 v192, v[18:21] offset:4320
	;; [unrolled: 1-line block ×12, first 2 shown]
	s_and_saveexec_b32 s1, vcc_lo
	s_cbranch_execz .LBB0_9
; %bb.8:
	v_add_co_u32 v52, s0, 0x6db0, v84
	v_add_co_ci_u32_e64 v53, s0, 0, v85, s0
	v_add_co_u32 v12, s0, 0x800, v52
	v_add_co_ci_u32_e64 v13, s0, 0, v53, s0
	;; [unrolled: 2-line block ×4, first 2 shown]
	s_clause 0x3
	global_load_dwordx4 v[8:11], v[52:53], off offset:1872
	global_load_dwordx4 v[12:15], v[12:13], off offset:1984
	;; [unrolled: 1-line block ×4, first 2 shown]
	v_add_co_u32 v24, s0, 0x2800, v52
	v_add_co_ci_u32_e64 v25, s0, 0, v53, s0
	v_add_co_u32 v28, s0, 0x3000, v52
	v_add_co_ci_u32_e64 v29, s0, 0, v53, s0
	;; [unrolled: 2-line block ×3, first 2 shown]
	global_load_dwordx4 v[24:27], v[24:25], off offset:272
	v_add_co_u32 v36, s0, 0x4000, v52
	v_add_co_ci_u32_e64 v37, s0, 0, v53, s0
	v_add_co_u32 v40, s0, 0x4800, v52
	v_add_co_ci_u32_e64 v41, s0, 0, v53, s0
	;; [unrolled: 2-line block ×6, first 2 shown]
	s_clause 0x7
	global_load_dwordx4 v[28:31], v[28:29], off offset:384
	global_load_dwordx4 v[32:35], v[32:33], off offset:496
	;; [unrolled: 1-line block ×8, first 2 shown]
	ds_read_b128 v[60:63], v192 offset:1872
	ds_read_b128 v[68:71], v192 offset:4032
	;; [unrolled: 1-line block ×12, first 2 shown]
	s_waitcnt vmcnt(12) lgkmcnt(11)
	v_mul_f64 v[193:194], v[62:63], v[10:11]
	v_mul_f64 v[10:11], v[60:61], v[10:11]
	s_waitcnt vmcnt(11) lgkmcnt(10)
	v_mul_f64 v[98:99], v[70:71], v[14:15]
	v_mul_f64 v[14:15], v[68:69], v[14:15]
	;; [unrolled: 3-line block ×5, first 2 shown]
	v_fma_f64 v[60:61], v[60:61], v[8:9], -v[193:194]
	v_fma_f64 v[62:63], v[62:63], v[8:9], v[10:11]
	ds_read_b128 v[8:11], v192 offset:27792
	v_fma_f64 v[68:69], v[68:69], v[12:13], -v[98:99]
	v_fma_f64 v[70:71], v[70:71], v[12:13], v[14:15]
	v_fma_f64 v[12:13], v[72:73], v[16:17], -v[120:121]
	v_fma_f64 v[14:15], v[74:75], v[16:17], v[18:19]
	;; [unrolled: 2-line block ×3, first 2 shown]
	s_waitcnt vmcnt(7) lgkmcnt(7)
	v_mul_f64 v[126:127], v[88:89], v[30:31]
	v_mul_f64 v[30:31], v[86:87], v[30:31]
	s_waitcnt vmcnt(6) lgkmcnt(6)
	v_mul_f64 v[98:99], v[92:93], v[34:35]
	v_mul_f64 v[34:35], v[90:91], v[34:35]
	;; [unrolled: 3-line block ×7, first 2 shown]
	v_fma_f64 v[20:21], v[80:81], v[24:25], -v[124:125]
	s_waitcnt vmcnt(0) lgkmcnt(0)
	v_mul_f64 v[80:81], v[10:11], v[58:59]
	v_mul_f64 v[58:59], v[8:9], v[58:59]
	v_fma_f64 v[22:23], v[82:83], v[24:25], v[26:27]
	v_fma_f64 v[24:25], v[86:87], v[28:29], -v[126:127]
	v_fma_f64 v[26:27], v[88:89], v[28:29], v[30:31]
	v_fma_f64 v[28:29], v[90:91], v[32:33], -v[98:99]
	;; [unrolled: 2-line block ×8, first 2 shown]
	v_fma_f64 v[10:11], v[10:11], v[56:57], v[58:59]
	ds_write_b128 v192, v[60:63] offset:1872
	ds_write_b128 v192, v[68:71] offset:4032
	;; [unrolled: 1-line block ×13, first 2 shown]
.LBB0_9:
	s_or_b32 exec_lo, exec_lo, s1
	s_waitcnt lgkmcnt(0)
	s_waitcnt_vscnt null, 0x0
	s_barrier
	buffer_gl0_inv
	ds_read_b128 v[28:31], v192
	ds_read_b128 v[56:59], v192 offset:2160
	ds_read_b128 v[52:55], v192 offset:4320
	;; [unrolled: 1-line block ×12, first 2 shown]
	s_and_saveexec_b32 s0, vcc_lo
	s_cbranch_execz .LBB0_11
; %bb.10:
	ds_read_b128 v[0:3], v192 offset:1872
	ds_read_b128 v[4:7], v192 offset:4032
	;; [unrolled: 1-line block ×3, first 2 shown]
	s_waitcnt lgkmcnt(0)
	buffer_store_dword v60, off, s[48:51], 0 offset:128 ; 4-byte Folded Spill
	buffer_store_dword v61, off, s[48:51], 0 offset:132 ; 4-byte Folded Spill
	buffer_store_dword v62, off, s[48:51], 0 offset:136 ; 4-byte Folded Spill
	buffer_store_dword v63, off, s[48:51], 0 offset:140 ; 4-byte Folded Spill
	ds_read_b128 v[60:63], v192 offset:8352
	s_waitcnt lgkmcnt(0)
	buffer_store_dword v60, off, s[48:51], 0 offset:80 ; 4-byte Folded Spill
	buffer_store_dword v61, off, s[48:51], 0 offset:84 ; 4-byte Folded Spill
	buffer_store_dword v62, off, s[48:51], 0 offset:88 ; 4-byte Folded Spill
	buffer_store_dword v63, off, s[48:51], 0 offset:92 ; 4-byte Folded Spill
	ds_read_b128 v[60:63], v192 offset:10512
	;; [unrolled: 6-line block ×10, first 2 shown]
	s_waitcnt lgkmcnt(0)
	buffer_store_dword v60, off, s[48:51], 0 ; 4-byte Folded Spill
	buffer_store_dword v61, off, s[48:51], 0 offset:4 ; 4-byte Folded Spill
	buffer_store_dword v62, off, s[48:51], 0 offset:8 ; 4-byte Folded Spill
	;; [unrolled: 1-line block ×3, first 2 shown]
.LBB0_11:
	s_or_b32 exec_lo, exec_lo, s0
	s_waitcnt lgkmcnt(11)
	v_add_f64 v[60:61], v[28:29], v[56:57]
	v_add_f64 v[62:63], v[30:31], v[58:59]
	s_waitcnt lgkmcnt(0)
	v_add_f64 v[70:71], v[58:59], v[26:27]
	v_add_f64 v[58:59], v[58:59], -v[26:27]
	s_mov_b32 s38, 0x4267c47c
	s_mov_b32 s0, 0xe00740e9
	;; [unrolled: 1-line block ×18, first 2 shown]
	v_add_f64 v[60:61], v[60:61], v[52:53]
	v_add_f64 v[62:63], v[62:63], v[54:55]
	s_mov_b32 s35, 0xbfedeba7
	s_mov_b32 s29, 0xbfd6b1d8
	;; [unrolled: 1-line block ×6, first 2 shown]
	v_add_f64 v[68:69], v[56:57], v[24:25]
	v_add_f64 v[56:57], v[56:57], -v[24:25]
	v_add_f64 v[74:75], v[54:55], v[34:35]
	v_add_f64 v[54:55], v[54:55], -v[34:35]
	v_add_f64 v[80:81], v[44:45], v[40:41]
	v_add_f64 v[82:83], v[46:47], v[42:43]
	v_mul_f64 v[86:87], v[58:59], s[38:39]
	v_mul_f64 v[88:89], v[70:71], s[0:1]
	;; [unrolled: 1-line block ×8, first 2 shown]
	v_add_f64 v[60:61], v[60:61], v[48:49]
	v_add_f64 v[62:63], v[62:63], v[50:51]
	v_mul_f64 v[106:107], v[58:59], s[26:27]
	v_mul_f64 v[108:109], v[70:71], s[14:15]
	;; [unrolled: 1-line block ×4, first 2 shown]
	s_mov_b32 s13, 0x3fddbe06
	s_mov_b32 s19, 0x3fea55e2
	;; [unrolled: 1-line block ×9, first 2 shown]
	v_add_f64 v[72:73], v[52:53], v[32:33]
	v_add_f64 v[52:53], v[52:53], -v[32:33]
	v_add_f64 v[76:77], v[48:49], v[36:37]
	v_add_f64 v[78:79], v[50:51], v[38:39]
	v_add_f64 v[48:49], v[48:49], -v[36:37]
	v_add_f64 v[50:51], v[50:51], -v[38:39]
	v_mul_f64 v[110:111], v[54:55], s[20:21]
	v_add_f64 v[60:61], v[60:61], v[44:45]
	v_add_f64 v[62:63], v[62:63], v[46:47]
	v_add_f64 v[44:45], v[44:45], -v[40:41]
	v_add_f64 v[46:47], v[46:47], -v[42:43]
	v_mul_f64 v[114:115], v[54:55], s[34:35]
	v_mul_f64 v[116:117], v[54:55], s[22:23]
	;; [unrolled: 1-line block ×5, first 2 shown]
	v_fma_f64 v[122:123], v[68:69], s[0:1], v[86:87]
	v_fma_f64 v[124:125], v[56:57], s[12:13], v[88:89]
	v_fma_f64 v[86:87], v[68:69], s[0:1], -v[86:87]
	v_fma_f64 v[88:89], v[56:57], s[38:39], v[88:89]
	v_fma_f64 v[126:127], v[68:69], s[2:3], v[90:91]
	;; [unrolled: 1-line block ×6, first 2 shown]
	v_fma_f64 v[98:99], v[68:69], s[28:29], -v[98:99]
	v_fma_f64 v[104:105], v[56:57], s[34:35], v[104:105]
	v_fma_f64 v[132:133], v[68:69], s[14:15], v[106:107]
	;; [unrolled: 1-line block ×3, first 2 shown]
	v_add_f64 v[60:61], v[60:61], v[16:17]
	v_add_f64 v[62:63], v[62:63], v[18:19]
	v_fma_f64 v[106:107], v[68:69], s[14:15], -v[106:107]
	v_fma_f64 v[108:109], v[56:57], s[26:27], v[108:109]
	v_fma_f64 v[136:137], v[68:69], s[4:5], v[58:59]
	v_fma_f64 v[58:59], v[68:69], s[4:5], -v[58:59]
	v_mul_f64 v[112:113], v[74:75], s[2:3]
	v_mul_f64 v[140:141], v[74:75], s[16:17]
	s_waitcnt_vscnt null, 0x0
	v_add_f64 v[122:123], v[28:29], v[122:123]
	v_add_f64 v[124:125], v[30:31], v[124:125]
	;; [unrolled: 1-line block ×18, first 2 shown]
	v_mul_f64 v[193:194], v[74:75], s[14:15]
	v_fma_f64 v[142:143], v[52:53], s[18:19], v[112:113]
	v_fma_f64 v[112:113], v[52:53], s[20:21], v[112:113]
	s_barrier
	buffer_gl0_inv
	v_add_f64 v[60:61], v[60:61], v[12:13]
	v_add_f64 v[62:63], v[62:63], v[14:15]
	v_fma_f64 v[148:149], v[52:53], s[26:27], v[193:194]
	v_fma_f64 v[150:151], v[52:53], s[36:37], v[193:194]
	;; [unrolled: 1-line block ×4, first 2 shown]
	v_add_f64 v[60:61], v[60:61], v[20:21]
	v_add_f64 v[62:63], v[62:63], v[22:23]
	;; [unrolled: 1-line block ×6, first 2 shown]
	v_fma_f64 v[60:61], v[56:57], s[18:19], v[92:93]
	v_fma_f64 v[62:63], v[68:69], s[2:3], -v[90:91]
	v_fma_f64 v[90:91], v[56:57], s[20:21], v[92:93]
	v_fma_f64 v[92:93], v[68:69], s[16:17], v[94:95]
	v_fma_f64 v[94:95], v[68:69], s[16:17], -v[94:95]
	v_fma_f64 v[68:69], v[56:57], s[40:41], v[70:71]
	v_fma_f64 v[56:57], v[56:57], s[22:23], v[70:71]
	v_mul_f64 v[70:71], v[74:75], s[28:29]
	v_add_f64 v[36:37], v[40:41], v[36:37]
	v_add_f64 v[38:39], v[42:43], v[38:39]
	v_fma_f64 v[40:41], v[72:73], s[2:3], v[110:111]
	v_fma_f64 v[42:43], v[72:73], s[2:3], -v[110:111]
	v_fma_f64 v[110:111], v[72:73], s[28:29], v[114:115]
	v_fma_f64 v[114:115], v[72:73], s[28:29], -v[114:115]
	v_add_f64 v[60:61], v[30:31], v[60:61]
	v_add_f64 v[62:63], v[28:29], v[62:63]
	v_add_f64 v[90:91], v[30:31], v[90:91]
	v_add_f64 v[92:93], v[28:29], v[92:93]
	v_add_f64 v[94:95], v[28:29], v[94:95]
	v_add_f64 v[68:69], v[30:31], v[68:69]
	v_add_f64 v[28:29], v[28:29], v[58:59]
	v_add_f64 v[30:31], v[30:31], v[56:57]
	v_fma_f64 v[56:57], v[72:73], s[4:5], v[116:117]
	v_fma_f64 v[58:59], v[72:73], s[4:5], -v[116:117]
	v_fma_f64 v[116:117], v[72:73], s[14:15], v[118:119]
	v_fma_f64 v[118:119], v[72:73], s[14:15], -v[118:119]
	v_fma_f64 v[144:145], v[52:53], s[42:43], v[70:71]
	v_fma_f64 v[70:71], v[52:53], s[34:35], v[70:71]
	v_add_f64 v[32:33], v[36:37], v[32:33]
	v_add_f64 v[34:35], v[38:39], v[34:35]
	v_fma_f64 v[36:37], v[72:73], s[16:17], v[120:121]
	v_fma_f64 v[38:39], v[72:73], s[16:17], -v[120:121]
	v_fma_f64 v[120:121], v[72:73], s[0:1], v[54:55]
	v_fma_f64 v[54:55], v[72:73], s[0:1], -v[54:55]
	v_mul_f64 v[72:73], v[74:75], s[4:5]
	v_mul_f64 v[74:75], v[74:75], s[0:1]
	v_add_f64 v[42:43], v[42:43], v[86:87]
	v_add_f64 v[86:87], v[112:113], v[88:89]
	v_mul_f64 v[112:113], v[50:51], s[22:23]
	v_add_f64 v[40:41], v[40:41], v[122:123]
	v_add_f64 v[88:89], v[110:111], v[126:127]
	;; [unrolled: 1-line block ×4, first 2 shown]
	v_mul_f64 v[92:93], v[78:79], s[16:17]
	v_add_f64 v[58:59], v[58:59], v[94:95]
	v_mul_f64 v[94:95], v[78:79], s[4:5]
	v_add_f64 v[114:115], v[116:117], v[128:129]
	v_add_f64 v[70:71], v[70:71], v[90:91]
	v_mul_f64 v[90:91], v[50:51], s[30:31]
	v_mul_f64 v[116:117], v[78:79], s[28:29]
	v_add_f64 v[122:123], v[148:149], v[130:131]
	v_add_f64 v[130:131], v[193:194], v[134:135]
	;; [unrolled: 1-line block ×3, first 2 shown]
	v_mul_f64 v[132:133], v[50:51], s[20:21]
	v_add_f64 v[60:61], v[144:145], v[60:61]
	v_add_f64 v[98:99], v[118:119], v[98:99]
	v_fma_f64 v[146:147], v[52:53], s[40:41], v[72:73]
	v_fma_f64 v[72:73], v[52:53], s[22:23], v[72:73]
	;; [unrolled: 1-line block ×4, first 2 shown]
	v_add_f64 v[74:75], v[142:143], v[124:125]
	v_mul_f64 v[124:125], v[50:51], s[12:13]
	v_fma_f64 v[134:135], v[76:77], s[4:5], v[112:113]
	v_fma_f64 v[112:113], v[76:77], s[4:5], -v[112:113]
	v_mul_f64 v[118:119], v[78:79], s[0:1]
	v_fma_f64 v[128:129], v[48:49], s[24:25], v[92:93]
	v_add_f64 v[38:39], v[38:39], v[106:107]
	v_mul_f64 v[106:107], v[78:79], s[2:3]
	v_fma_f64 v[92:93], v[48:49], s[30:31], v[92:93]
	v_mul_f64 v[78:79], v[78:79], s[14:15]
	v_fma_f64 v[126:127], v[76:77], s[16:17], v[90:91]
	v_fma_f64 v[90:91], v[76:77], s[16:17], -v[90:91]
	v_add_f64 v[120:121], v[120:121], v[136:137]
	v_fma_f64 v[136:137], v[48:49], s[40:41], v[94:95]
	v_add_f64 v[28:29], v[54:55], v[28:29]
	v_mul_f64 v[54:55], v[82:83], s[28:29]
	v_fma_f64 v[94:95], v[48:49], s[22:23], v[94:95]
	v_add_f64 v[24:25], v[32:33], v[24:25]
	v_add_f64 v[110:111], v[146:147], v[138:139]
	;; [unrolled: 1-line block ×3, first 2 shown]
	v_mul_f64 v[96:97], v[50:51], s[42:43]
	v_mul_f64 v[50:51], v[50:51], s[26:27]
	;; [unrolled: 1-line block ×3, first 2 shown]
	v_add_f64 v[30:31], v[52:53], v[30:31]
	v_add_f64 v[68:69], v[152:153], v[68:69]
	;; [unrolled: 1-line block ×5, first 2 shown]
	v_mul_f64 v[128:129], v[46:47], s[36:37]
	v_add_f64 v[88:89], v[134:135], v[88:89]
	v_add_f64 v[86:87], v[92:93], v[86:87]
	v_fma_f64 v[92:93], v[48:49], s[38:39], v[118:119]
	v_add_f64 v[40:41], v[126:127], v[40:41]
	v_fma_f64 v[126:127], v[48:49], s[34:35], v[116:117]
	v_fma_f64 v[116:117], v[48:49], s[42:43], v[116:117]
	v_add_f64 v[42:43], v[90:91], v[42:43]
	v_fma_f64 v[90:91], v[76:77], s[0:1], v[124:125]
	;; [unrolled: 3-line block ×4, first 2 shown]
	v_fma_f64 v[96:97], v[76:77], s[28:29], -v[96:97]
	v_fma_f64 v[112:113], v[76:77], s[14:15], v[50:51]
	v_fma_f64 v[50:51], v[76:77], s[14:15], -v[50:51]
	v_fma_f64 v[94:95], v[48:49], s[36:37], v[78:79]
	v_fma_f64 v[48:49], v[48:49], s[26:27], v[78:79]
	;; [unrolled: 1-line block ×3, first 2 shown]
	v_fma_f64 v[124:125], v[76:77], s[0:1], -v[124:125]
	v_fma_f64 v[134:135], v[76:77], s[2:3], v[132:133]
	v_fma_f64 v[132:133], v[76:77], s[2:3], -v[132:133]
	v_add_f64 v[76:77], v[92:93], v[122:123]
	v_add_f64 v[34:35], v[116:117], v[72:73]
	v_mul_f64 v[72:73], v[82:83], s[14:15]
	v_mul_f64 v[116:117], v[82:83], s[16:17]
	v_add_f64 v[106:107], v[106:107], v[108:109]
	v_add_f64 v[52:53], v[52:53], v[56:57]
	;; [unrolled: 1-line block ×5, first 2 shown]
	v_fma_f64 v[90:91], v[44:45], s[42:43], v[54:55]
	v_fma_f64 v[54:55], v[44:45], s[34:35], v[54:55]
	v_mul_f64 v[110:111], v[46:47], s[12:13]
	v_mul_f64 v[114:115], v[82:83], s[0:1]
	v_add_f64 v[28:29], v[50:51], v[28:29]
	v_add_f64 v[50:51], v[18:19], -v[22:23]
	v_add_f64 v[96:97], v[118:119], v[104:105]
	v_fma_f64 v[104:105], v[80:81], s[28:29], -v[138:139]
	v_add_f64 v[108:109], v[112:113], v[120:121]
	v_add_f64 v[68:69], v[94:95], v[68:69]
	v_fma_f64 v[94:95], v[80:81], s[14:15], v[128:129]
	v_mul_f64 v[112:113], v[46:47], s[30:31]
	v_fma_f64 v[118:119], v[44:45], s[26:27], v[72:73]
	v_add_f64 v[30:31], v[48:49], v[30:31]
	v_add_f64 v[18:19], v[18:19], v[22:23]
	v_add_f64 v[22:23], v[78:79], v[40:41]
	v_mul_f64 v[48:49], v[46:47], s[40:41]
	v_fma_f64 v[72:73], v[44:45], s[36:37], v[72:73]
	v_mul_f64 v[78:79], v[82:83], s[4:5]
	v_mul_f64 v[82:83], v[82:83], s[2:3]
	;; [unrolled: 1-line block ×3, first 2 shown]
	v_add_f64 v[120:121], v[16:17], v[20:21]
	v_add_f64 v[40:41], v[90:91], v[74:75]
	v_fma_f64 v[74:75], v[80:81], s[14:15], -v[128:129]
	v_add_f64 v[54:55], v[54:55], v[86:87]
	v_fma_f64 v[86:87], v[80:81], s[0:1], v[110:111]
	v_fma_f64 v[90:91], v[44:45], s[38:39], v[114:115]
	v_mul_f64 v[122:123], v[50:51], s[26:27]
	v_add_f64 v[92:93], v[124:125], v[98:99]
	v_add_f64 v[98:99], v[136:137], v[130:131]
	;; [unrolled: 1-line block ×4, first 2 shown]
	v_fma_f64 v[104:105], v[80:81], s[0:1], -v[110:111]
	v_fma_f64 v[110:111], v[44:45], s[12:13], v[114:115]
	v_add_f64 v[88:89], v[94:95], v[88:89]
	v_fma_f64 v[94:95], v[80:81], s[16:17], v[112:113]
	v_fma_f64 v[114:115], v[44:45], s[24:25], v[116:117]
	v_add_f64 v[60:61], v[118:119], v[60:61]
	v_add_f64 v[16:17], v[16:17], -v[20:21]
	v_mul_f64 v[20:21], v[18:19], s[14:15]
	v_fma_f64 v[116:117], v[44:45], s[30:31], v[116:117]
	v_fma_f64 v[118:119], v[80:81], s[4:5], v[48:49]
	v_add_f64 v[70:71], v[72:73], v[70:71]
	v_fma_f64 v[72:73], v[44:45], s[22:23], v[78:79]
	v_fma_f64 v[48:49], v[80:81], s[4:5], -v[48:49]
	v_add_f64 v[62:63], v[74:75], v[62:63]
	v_fma_f64 v[74:75], v[44:45], s[40:41], v[78:79]
	v_add_f64 v[52:53], v[86:87], v[52:53]
	v_fma_f64 v[86:87], v[44:45], s[20:21], v[82:83]
	v_fma_f64 v[44:45], v[44:45], s[18:19], v[82:83]
	v_add_f64 v[56:57], v[90:91], v[56:57]
	v_fma_f64 v[78:79], v[80:81], s[2:3], v[46:47]
	v_fma_f64 v[46:47], v[80:81], s[2:3], -v[46:47]
	v_mul_f64 v[90:91], v[18:19], s[16:17]
	v_fma_f64 v[112:113], v[80:81], s[16:17], -v[112:113]
	v_fma_f64 v[80:81], v[120:121], s[14:15], v[122:123]
	v_mul_f64 v[82:83], v[50:51], s[24:25]
	v_add_f64 v[32:33], v[104:105], v[32:33]
	v_add_f64 v[58:59], v[94:95], v[58:59]
	v_mul_f64 v[104:105], v[50:51], s[20:21]
	v_add_f64 v[36:37], v[134:135], v[36:37]
	v_fma_f64 v[94:95], v[16:17], s[36:37], v[20:21]
	v_fma_f64 v[20:21], v[16:17], s[26:27], v[20:21]
	v_add_f64 v[34:35], v[110:111], v[34:35]
	v_mul_f64 v[110:111], v[18:19], s[2:3]
	v_add_f64 v[72:73], v[72:73], v[98:99]
	v_add_f64 v[38:39], v[48:49], v[38:39]
	v_mul_f64 v[98:99], v[50:51], s[40:41]
	v_add_f64 v[48:49], v[74:75], v[106:107]
	v_fma_f64 v[74:75], v[120:121], s[14:15], -v[122:123]
	v_mul_f64 v[106:107], v[18:19], s[4:5]
	v_add_f64 v[30:31], v[44:45], v[30:31]
	v_add_f64 v[44:45], v[10:11], -v[14:15]
	v_add_f64 v[68:69], v[86:87], v[68:69]
	v_add_f64 v[28:29], v[46:47], v[28:29]
	v_fma_f64 v[46:47], v[16:17], s[30:31], v[90:91]
	v_add_f64 v[10:11], v[10:11], v[14:15]
	v_add_f64 v[14:15], v[80:81], v[22:23]
	v_fma_f64 v[80:81], v[120:121], s[16:17], -v[82:83]
	v_mul_f64 v[86:87], v[50:51], s[12:13]
	v_add_f64 v[78:79], v[78:79], v[108:109]
	v_fma_f64 v[22:23], v[120:121], s[16:17], v[82:83]
	v_fma_f64 v[82:83], v[16:17], s[24:25], v[90:91]
	v_mul_f64 v[108:109], v[18:19], s[0:1]
	v_add_f64 v[76:77], v[114:115], v[76:77]
	v_add_f64 v[92:93], v[112:113], v[92:93]
	v_fma_f64 v[90:91], v[120:121], s[2:3], v[104:105]
	v_fma_f64 v[104:105], v[120:121], s[2:3], -v[104:105]
	v_add_f64 v[114:115], v[20:21], v[54:55]
	v_mul_f64 v[20:21], v[50:51], s[34:35]
	v_mul_f64 v[18:19], v[18:19], s[28:29]
	v_add_f64 v[42:43], v[74:75], v[42:43]
	v_fma_f64 v[74:75], v[120:121], s[4:5], v[98:99]
	v_fma_f64 v[112:113], v[16:17], s[22:23], v[106:107]
	v_add_f64 v[50:51], v[8:9], v[12:13]
	v_mul_f64 v[54:55], v[44:45], s[22:23]
	v_add_f64 v[96:97], v[116:117], v[96:97]
	v_add_f64 v[46:47], v[46:47], v[60:61]
	v_fma_f64 v[60:61], v[16:17], s[40:41], v[106:107]
	v_add_f64 v[36:37], v[118:119], v[36:37]
	v_add_f64 v[62:63], v[80:81], v[62:63]
	v_fma_f64 v[80:81], v[120:121], s[0:1], v[86:87]
	v_add_f64 v[40:41], v[94:95], v[40:41]
	v_fma_f64 v[94:95], v[16:17], s[18:19], v[110:111]
	v_fma_f64 v[110:111], v[16:17], s[20:21], v[110:111]
	v_add_f64 v[12:13], v[8:9], -v[12:13]
	v_mul_f64 v[116:117], v[10:11], s[4:5]
	v_add_f64 v[70:71], v[82:83], v[70:71]
	v_fma_f64 v[82:83], v[16:17], s[38:39], v[108:109]
	v_fma_f64 v[86:87], v[120:121], s[0:1], -v[86:87]
	v_fma_f64 v[8:9], v[120:121], s[4:5], -v[98:99]
	v_add_f64 v[52:53], v[90:91], v[52:53]
	v_add_f64 v[32:33], v[104:105], v[32:33]
	v_fma_f64 v[90:91], v[16:17], s[42:43], v[18:19]
	v_add_f64 v[58:59], v[74:75], v[58:59]
	v_add_f64 v[74:75], v[112:113], v[76:77]
	v_fma_f64 v[76:77], v[16:17], s[12:13], v[108:109]
	v_fma_f64 v[16:17], v[16:17], s[34:35], v[18:19]
	;; [unrolled: 1-line block ×3, first 2 shown]
	v_mul_f64 v[98:99], v[44:45], s[12:13]
	v_mul_f64 v[104:105], v[10:11], s[0:1]
	v_add_f64 v[22:23], v[22:23], v[88:89]
	v_fma_f64 v[88:89], v[120:121], s[28:29], v[20:21]
	v_fma_f64 v[20:21], v[120:121], s[28:29], -v[20:21]
	v_add_f64 v[60:61], v[60:61], v[96:97]
	v_mul_f64 v[96:97], v[44:45], s[26:27]
	v_mul_f64 v[106:107], v[10:11], s[14:15]
	v_add_f64 v[80:81], v[80:81], v[36:37]
	v_mul_f64 v[36:37], v[44:45], s[18:19]
	v_mul_f64 v[108:109], v[10:11], s[2:3]
	v_add_f64 v[56:57], v[94:95], v[56:57]
	v_add_f64 v[34:35], v[110:111], v[34:35]
	v_fma_f64 v[94:95], v[12:13], s[40:41], v[116:117]
	v_add_f64 v[72:73], v[82:83], v[72:73]
	v_mul_f64 v[82:83], v[44:45], s[34:35]
	v_mul_f64 v[110:111], v[10:11], s[28:29]
	v_add_f64 v[86:87], v[86:87], v[38:39]
	v_mul_f64 v[38:39], v[44:45], s[24:25]
	v_mul_f64 v[44:45], v[10:11], s[16:17]
	v_add_f64 v[92:93], v[8:9], v[92:93]
	v_add_f64 v[68:69], v[90:91], v[68:69]
	;; [unrolled: 1-line block ×4, first 2 shown]
	v_fma_f64 v[16:17], v[50:51], s[0:1], v[98:99]
	v_fma_f64 v[18:19], v[12:13], s[38:39], v[104:105]
	v_add_f64 v[78:79], v[88:89], v[78:79]
	v_add_f64 v[88:89], v[20:21], v[28:29]
	v_fma_f64 v[28:29], v[50:51], s[14:15], v[96:97]
	v_fma_f64 v[30:31], v[12:13], s[36:37], v[106:107]
	v_add_f64 v[76:77], v[76:77], v[48:49]
	v_fma_f64 v[14:15], v[50:51], s[4:5], -v[54:55]
	v_fma_f64 v[48:49], v[50:51], s[2:3], v[36:37]
	v_fma_f64 v[54:55], v[12:13], s[20:21], v[108:109]
	v_fma_f64 v[20:21], v[50:51], s[0:1], -v[98:99]
	v_add_f64 v[10:11], v[94:95], v[40:41]
	v_fma_f64 v[40:41], v[50:51], s[14:15], -v[96:97]
	v_fma_f64 v[96:97], v[50:51], s[28:29], v[82:83]
	v_fma_f64 v[98:99], v[12:13], s[42:43], v[110:111]
	v_fma_f64 v[94:95], v[50:51], s[2:3], -v[36:37]
	v_fma_f64 v[112:113], v[50:51], s[16:17], v[38:39]
	v_fma_f64 v[118:119], v[12:13], s[30:31], v[44:45]
	v_fma_f64 v[82:83], v[50:51], s[28:29], -v[82:83]
	v_fma_f64 v[50:51], v[50:51], s[16:17], -v[38:39]
	v_fma_f64 v[120:121], v[12:13], s[24:25], v[44:45]
	v_fma_f64 v[110:111], v[12:13], s[34:35], v[110:111]
	;; [unrolled: 1-line block ×6, first 2 shown]
	v_add_f64 v[16:17], v[16:17], v[22:23]
	v_add_f64 v[18:19], v[18:19], v[46:47]
	;; [unrolled: 1-line block ×22, first 2 shown]
	ds_write_b128 v195, v[24:27]
	ds_write_b128 v195, v[8:11] offset:16
	ds_write_b128 v195, v[16:19] offset:32
	;; [unrolled: 1-line block ×12, first 2 shown]
	s_and_saveexec_b32 s33, vcc_lo
	s_cbranch_execz .LBB0_13
; %bb.12:
	s_clause 0x2b
	buffer_load_dword v126, off, s[48:51], 0
	buffer_load_dword v127, off, s[48:51], 0 offset:4
	buffer_load_dword v128, off, s[48:51], 0 offset:8
	;; [unrolled: 1-line block ×43, first 2 shown]
	v_add_f64 v[16:17], v[2:3], v[6:7]
	v_add_f64 v[18:19], v[0:1], v[4:5]
	s_waitcnt vmcnt(42)
	v_add_f64 v[8:9], v[4:5], -v[126:127]
	s_waitcnt vmcnt(40)
	v_add_f64 v[10:11], v[6:7], -v[128:129]
	;; [unrolled: 2-line block ×4, first 2 shown]
	v_add_f64 v[6:7], v[6:7], v[128:129]
	v_add_f64 v[4:5], v[4:5], v[126:127]
	;; [unrolled: 1-line block ×4, first 2 shown]
	s_waitcnt vmcnt(26)
	v_add_f64 v[22:23], v[48:49], -v[120:121]
	s_waitcnt vmcnt(24)
	v_add_f64 v[20:21], v[50:51], -v[122:123]
	v_add_f64 v[16:17], v[34:35], v[132:133]
	v_add_f64 v[18:19], v[32:33], v[130:131]
	s_waitcnt vmcnt(18)
	v_add_f64 v[32:33], v[68:69], -v[134:135]
	v_mul_f64 v[24:25], v[8:9], s[22:23]
	v_mul_f64 v[26:27], v[10:11], s[22:23]
	;; [unrolled: 1-line block ×6, first 2 shown]
	v_add_f64 v[46:47], v[28:29], v[50:51]
	v_add_f64 v[30:31], v[30:31], v[48:49]
	s_waitcnt vmcnt(16)
	v_add_f64 v[28:29], v[70:71], -v[136:137]
	v_mul_f64 v[98:99], v[20:21], s[20:21]
	v_mul_f64 v[108:109], v[14:15], s[36:37]
	;; [unrolled: 1-line block ×3, first 2 shown]
	v_fma_f64 v[36:37], v[6:7], s[4:5], v[24:25]
	v_fma_f64 v[40:41], v[4:5], s[4:5], -v[26:27]
	v_fma_f64 v[44:45], v[4:5], s[4:5], v[26:27]
	v_fma_f64 v[42:43], v[6:7], s[4:5], -v[24:25]
	v_add_f64 v[24:25], v[50:51], v[122:123]
	v_add_f64 v[26:27], v[48:49], v[120:121]
	v_mul_f64 v[48:49], v[22:23], s[26:27]
	v_mul_f64 v[50:51], v[20:21], s[26:27]
	v_fma_f64 v[52:53], v[16:17], s[0:1], v[34:35]
	v_fma_f64 v[56:57], v[18:19], s[0:1], -v[38:39]
	v_fma_f64 v[60:61], v[18:19], s[0:1], v[38:39]
	v_fma_f64 v[58:59], v[16:17], s[0:1], -v[34:35]
	v_add_f64 v[46:47], v[46:47], v[70:71]
	v_add_f64 v[62:63], v[30:31], v[68:69]
	s_waitcnt vmcnt(10)
	v_add_f64 v[34:35], v[74:75], -v[114:115]
	v_add_f64 v[38:39], v[70:71], v[136:137]
	s_waitcnt vmcnt(8)
	v_add_f64 v[30:31], v[76:77], -v[116:117]
	v_mul_f64 v[70:71], v[28:29], s[18:19]
	v_fma_f64 v[94:95], v[4:5], s[14:15], -v[78:79]
	v_fma_f64 v[78:79], v[4:5], s[14:15], v[78:79]
	v_fma_f64 v[110:111], v[18:19], s[16:17], -v[92:93]
	v_fma_f64 v[92:93], v[18:19], s[16:17], v[92:93]
	v_add_f64 v[54:55], v[2:3], v[36:37]
	v_add_f64 v[40:41], v[0:1], v[40:41]
	;; [unrolled: 1-line block ×5, first 2 shown]
	v_mul_f64 v[68:69], v[32:33], s[18:19]
	v_fma_f64 v[72:73], v[24:25], s[14:15], v[48:49]
	v_fma_f64 v[48:49], v[24:25], s[14:15], -v[48:49]
	v_add_f64 v[46:47], v[46:47], v[76:77]
	v_mul_f64 v[80:81], v[30:31], s[34:35]
	v_add_f64 v[94:95], v[0:1], v[94:95]
	v_add_f64 v[78:79], v[0:1], v[78:79]
	;; [unrolled: 1-line block ×3, first 2 shown]
	v_fma_f64 v[54:55], v[26:27], s[14:15], -v[50:51]
	v_add_f64 v[56:57], v[56:57], v[40:41]
	v_fma_f64 v[50:51], v[26:27], s[14:15], v[50:51]
	v_add_f64 v[44:45], v[60:61], v[44:45]
	v_add_f64 v[58:59], v[58:59], v[42:43]
	;; [unrolled: 1-line block ×3, first 2 shown]
	s_waitcnt vmcnt(2)
	v_add_f64 v[42:43], v[86:87], -v[104:105]
	v_add_f64 v[40:41], v[76:77], v[116:117]
	v_mul_f64 v[62:63], v[8:9], s[26:27]
	v_add_f64 v[74:75], v[74:75], v[114:115]
	v_mul_f64 v[76:77], v[34:35], s[34:35]
	v_fma_f64 v[82:83], v[38:39], s[2:3], v[68:69]
	v_add_f64 v[94:95], v[110:111], v[94:95]
	v_fma_f64 v[110:111], v[26:27], s[2:3], -v[98:99]
	v_fma_f64 v[98:99], v[26:27], s[2:3], v[98:99]
	v_add_f64 v[52:53], v[72:73], v[52:53]
	v_fma_f64 v[72:73], v[36:37], s[2:3], -v[70:71]
	v_add_f64 v[54:55], v[54:55], v[56:57]
	v_fma_f64 v[56:57], v[38:39], s[2:3], -v[68:69]
	v_fma_f64 v[68:69], v[36:37], s[2:3], v[70:71]
	v_add_f64 v[50:51], v[50:51], v[44:45]
	v_add_f64 v[48:49], v[48:49], v[58:59]
	s_waitcnt vmcnt(0)
	v_add_f64 v[58:59], v[88:89], -v[106:107]
	v_add_f64 v[70:71], v[46:47], v[88:89]
	v_add_f64 v[60:61], v[60:61], v[86:87]
	;; [unrolled: 1-line block ×4, first 2 shown]
	v_mul_f64 v[86:87], v[14:15], s[24:25]
	v_fma_f64 v[88:89], v[6:7], s[14:15], v[62:63]
	v_mul_f64 v[90:91], v[42:43], s[24:25]
	v_fma_f64 v[96:97], v[40:41], s[28:29], v[76:77]
	v_fma_f64 v[62:63], v[6:7], s[14:15], -v[62:63]
	v_add_f64 v[94:95], v[110:111], v[94:95]
	v_add_f64 v[52:53], v[82:83], v[52:53]
	v_fma_f64 v[82:83], v[74:75], s[28:29], -v[80:81]
	v_add_f64 v[54:55], v[72:73], v[54:55]
	v_fma_f64 v[72:73], v[40:41], s[28:29], -v[76:77]
	v_fma_f64 v[76:77], v[74:75], s[28:29], v[80:81]
	v_add_f64 v[50:51], v[68:69], v[50:51]
	v_mul_f64 v[68:69], v[8:9], s[34:35]
	v_add_f64 v[48:49], v[56:57], v[48:49]
	v_mul_f64 v[56:57], v[58:59], s[24:25]
	v_mul_f64 v[80:81], v[22:23], s[20:21]
	v_add_f64 v[70:71], v[70:71], v[106:107]
	v_add_f64 v[60:61], v[60:61], v[104:105]
	v_mul_f64 v[104:105], v[10:11], s[34:35]
	v_fma_f64 v[106:107], v[16:17], s[16:17], v[86:87]
	v_add_f64 v[88:89], v[2:3], v[88:89]
	v_fma_f64 v[86:87], v[16:17], s[16:17], -v[86:87]
	v_add_f64 v[62:63], v[2:3], v[62:63]
	v_add_f64 v[52:53], v[96:97], v[52:53]
	v_mul_f64 v[96:97], v[12:13], s[36:37]
	v_add_f64 v[54:55], v[82:83], v[54:55]
	v_fma_f64 v[82:83], v[46:47], s[16:17], v[90:91]
	v_fma_f64 v[90:91], v[46:47], s[16:17], -v[90:91]
	v_add_f64 v[76:77], v[76:77], v[50:51]
	v_fma_f64 v[112:113], v[6:7], s[28:29], v[68:69]
	v_add_f64 v[72:73], v[72:73], v[48:49]
	v_fma_f64 v[48:49], v[44:45], s[16:17], -v[56:57]
	v_fma_f64 v[56:57], v[44:45], s[16:17], v[56:57]
	v_add_f64 v[70:71], v[70:71], v[116:117]
	v_add_f64 v[60:61], v[60:61], v[114:115]
	v_mul_f64 v[114:115], v[32:33], s[40:41]
	v_fma_f64 v[116:117], v[4:5], s[28:29], -v[104:105]
	v_add_f64 v[88:89], v[106:107], v[88:89]
	v_fma_f64 v[106:107], v[24:25], s[2:3], v[80:81]
	v_fma_f64 v[68:69], v[6:7], s[28:29], -v[68:69]
	v_add_f64 v[62:63], v[86:87], v[62:63]
	v_mul_f64 v[86:87], v[28:29], s[40:41]
	v_fma_f64 v[80:81], v[24:25], s[2:3], -v[80:81]
	v_fma_f64 v[104:105], v[4:5], s[28:29], v[104:105]
	v_add_f64 v[50:51], v[82:83], v[52:53]
	v_fma_f64 v[82:83], v[16:17], s[14:15], v[108:109]
	v_add_f64 v[112:113], v[2:3], v[112:113]
	v_add_f64 v[48:49], v[48:49], v[54:55]
	;; [unrolled: 1-line block ×4, first 2 shown]
	v_mul_f64 v[56:57], v[34:35], s[12:13]
	v_mul_f64 v[72:73], v[8:9], s[30:31]
	v_add_f64 v[76:77], v[92:93], v[78:79]
	v_fma_f64 v[78:79], v[18:19], s[14:15], -v[96:97]
	v_add_f64 v[90:91], v[0:1], v[116:117]
	v_add_f64 v[88:89], v[106:107], v[88:89]
	v_fma_f64 v[92:93], v[38:39], s[4:5], v[114:115]
	v_fma_f64 v[106:107], v[16:17], s[14:15], -v[108:109]
	v_add_f64 v[68:69], v[2:3], v[68:69]
	v_fma_f64 v[108:109], v[36:37], s[4:5], -v[86:87]
	v_fma_f64 v[110:111], v[38:39], s[4:5], -v[114:115]
	v_add_f64 v[62:63], v[80:81], v[62:63]
	v_mul_f64 v[80:81], v[30:31], s[12:13]
	v_fma_f64 v[96:97], v[18:19], s[14:15], v[96:97]
	v_add_f64 v[104:105], v[0:1], v[104:105]
	v_fma_f64 v[86:87], v[36:37], s[4:5], v[86:87]
	v_mul_f64 v[116:117], v[22:23], s[42:43]
	v_add_f64 v[82:83], v[82:83], v[112:113]
	v_fma_f64 v[112:113], v[24:25], s[0:1], v[118:119]
	v_add_f64 v[70:71], v[70:71], v[136:137]
	v_add_f64 v[60:61], v[60:61], v[134:135]
	;; [unrolled: 1-line block ×3, first 2 shown]
	v_mul_f64 v[98:99], v[32:33], s[30:31]
	v_add_f64 v[78:79], v[78:79], v[90:91]
	v_mul_f64 v[90:91], v[14:15], s[22:23]
	v_add_f64 v[88:89], v[92:93], v[88:89]
	v_fma_f64 v[92:93], v[40:41], s[0:1], v[56:57]
	v_add_f64 v[68:69], v[106:107], v[68:69]
	v_fma_f64 v[106:107], v[6:7], s[16:17], v[72:73]
	v_add_f64 v[94:95], v[108:109], v[94:95]
	v_mul_f64 v[108:109], v[20:21], s[12:13]
	v_add_f64 v[62:63], v[110:111], v[62:63]
	v_fma_f64 v[110:111], v[74:75], s[0:1], -v[80:81]
	v_fma_f64 v[56:57], v[40:41], s[0:1], -v[56:57]
	v_fma_f64 v[80:81], v[74:75], s[0:1], v[80:81]
	v_fma_f64 v[72:73], v[6:7], s[16:17], -v[72:73]
	v_add_f64 v[82:83], v[112:113], v[82:83]
	v_mul_f64 v[112:113], v[10:11], s[30:31]
	v_add_f64 v[70:71], v[70:71], v[122:123]
	v_add_f64 v[60:61], v[60:61], v[120:121]
	v_mul_f64 v[120:121], v[22:23], s[22:23]
	v_mul_f64 v[22:23], v[22:23], s[30:31]
	v_add_f64 v[76:77], v[86:87], v[76:77]
	v_fma_f64 v[86:87], v[24:25], s[0:1], -v[118:119]
	v_mul_f64 v[118:119], v[28:29], s[30:31]
	v_mul_f64 v[122:123], v[20:21], s[22:23]
	v_add_f64 v[88:89], v[92:93], v[88:89]
	v_fma_f64 v[92:93], v[16:17], s[4:5], v[90:91]
	v_add_f64 v[106:107], v[2:3], v[106:107]
	v_fma_f64 v[90:91], v[16:17], s[4:5], -v[90:91]
	v_fma_f64 v[114:115], v[26:27], s[0:1], -v[108:109]
	v_fma_f64 v[108:109], v[26:27], s[0:1], v[108:109]
	v_add_f64 v[94:95], v[110:111], v[94:95]
	v_add_f64 v[56:57], v[56:57], v[62:63]
	;; [unrolled: 1-line block ×3, first 2 shown]
	v_fma_f64 v[96:97], v[38:39], s[16:17], v[98:99]
	v_mul_f64 v[104:105], v[12:13], s[22:23]
	v_fma_f64 v[98:99], v[38:39], s[16:17], -v[98:99]
	v_fma_f64 v[110:111], v[4:5], s[16:17], -v[112:113]
	v_add_f64 v[72:73], v[2:3], v[72:73]
	v_fma_f64 v[112:113], v[4:5], s[16:17], v[112:113]
	v_add_f64 v[70:71], v[70:71], v[132:133]
	v_add_f64 v[60:61], v[60:61], v[130:131]
	;; [unrolled: 1-line block ×4, first 2 shown]
	v_fma_f64 v[86:87], v[36:37], s[16:17], -v[118:119]
	v_add_f64 v[92:93], v[92:93], v[106:107]
	v_fma_f64 v[106:107], v[24:25], s[28:29], v[116:117]
	v_add_f64 v[78:79], v[114:115], v[78:79]
	v_mul_f64 v[114:115], v[34:35], s[40:41]
	v_add_f64 v[62:63], v[108:109], v[62:63]
	v_add_f64 v[82:83], v[96:97], v[82:83]
	v_fma_f64 v[96:97], v[18:19], s[4:5], -v[104:105]
	v_mul_f64 v[108:109], v[32:33], s[12:13]
	v_add_f64 v[110:111], v[0:1], v[110:111]
	v_add_f64 v[72:73], v[90:91], v[72:73]
	v_fma_f64 v[104:105], v[18:19], s[4:5], v[104:105]
	v_add_f64 v[112:113], v[0:1], v[112:113]
	v_add_f64 v[68:69], v[98:99], v[68:69]
	v_mul_f64 v[98:99], v[34:35], s[20:21]
	v_add_f64 v[92:93], v[106:107], v[92:93]
	v_mul_f64 v[106:107], v[20:21], s[42:43]
	v_fma_f64 v[80:81], v[40:41], s[4:5], v[114:115]
	v_add_f64 v[78:79], v[86:87], v[78:79]
	v_fma_f64 v[86:87], v[36:37], s[16:17], v[118:119]
	v_fma_f64 v[114:115], v[40:41], s[4:5], -v[114:115]
	v_mul_f64 v[20:21], v[20:21], s[30:31]
	v_fma_f64 v[118:119], v[38:39], s[0:1], v[108:109]
	v_add_f64 v[96:97], v[96:97], v[110:111]
	v_mul_f64 v[110:111], v[30:31], s[40:41]
	v_fma_f64 v[108:109], v[38:39], s[0:1], -v[108:109]
	v_add_f64 v[80:81], v[80:81], v[82:83]
	v_fma_f64 v[82:83], v[26:27], s[28:29], -v[106:107]
	v_add_f64 v[62:63], v[86:87], v[62:63]
	v_add_f64 v[68:69], v[114:115], v[68:69]
	v_fma_f64 v[106:107], v[26:27], s[28:29], v[106:107]
	v_add_f64 v[86:87], v[118:119], v[92:93]
	v_fma_f64 v[92:93], v[24:25], s[28:29], -v[116:117]
	v_fma_f64 v[90:91], v[74:75], s[4:5], -v[110:111]
	v_mul_f64 v[116:117], v[28:29], s[12:13]
	v_fma_f64 v[110:111], v[74:75], s[4:5], v[110:111]
	v_mul_f64 v[118:119], v[8:9], s[20:21]
	v_mul_f64 v[8:9], v[8:9], s[38:39]
	v_add_f64 v[82:83], v[82:83], v[96:97]
	v_mul_f64 v[96:97], v[10:11], s[38:39]
	v_mul_f64 v[10:11], v[10:11], s[20:21]
	v_add_f64 v[72:73], v[92:93], v[72:73]
	v_add_f64 v[78:79], v[90:91], v[78:79]
	v_fma_f64 v[90:91], v[40:41], s[2:3], v[98:99]
	v_add_f64 v[92:93], v[104:105], v[112:113]
	v_fma_f64 v[104:105], v[36:37], s[0:1], -v[116:117]
	v_add_f64 v[62:63], v[110:111], v[62:63]
	v_fma_f64 v[110:111], v[6:7], s[2:3], -v[118:119]
	v_fma_f64 v[112:113], v[6:7], s[0:1], -v[8:9]
	v_fma_f64 v[114:115], v[6:7], s[2:3], v[118:119]
	v_fma_f64 v[6:7], v[6:7], s[0:1], v[8:9]
	;; [unrolled: 1-line block ×3, first 2 shown]
	v_fma_f64 v[98:99], v[40:41], s[2:3], -v[98:99]
	v_fma_f64 v[8:9], v[4:5], s[0:1], v[96:97]
	v_fma_f64 v[118:119], v[4:5], s[2:3], v[10:11]
	v_fma_f64 v[10:11], v[4:5], s[2:3], -v[10:11]
	v_fma_f64 v[4:5], v[4:5], s[0:1], -v[96:97]
	v_mul_f64 v[96:97], v[14:15], s[34:35]
	v_mul_f64 v[14:15], v[14:15], s[20:21]
	v_add_f64 v[72:73], v[108:109], v[72:73]
	v_add_f64 v[86:87], v[90:91], v[86:87]
	v_mul_f64 v[90:91], v[12:13], s[20:21]
	v_mul_f64 v[12:13], v[12:13], s[34:35]
	v_add_f64 v[82:83], v[104:105], v[82:83]
	v_add_f64 v[104:105], v[2:3], v[110:111]
	;; [unrolled: 1-line block ×10, first 2 shown]
	v_fma_f64 v[6:7], v[16:17], s[28:29], -v[96:97]
	v_fma_f64 v[4:5], v[16:17], s[2:3], -v[14:15]
	v_fma_f64 v[96:97], v[16:17], s[28:29], v[96:97]
	v_fma_f64 v[14:15], v[16:17], s[2:3], v[14:15]
	;; [unrolled: 1-line block ×4, first 2 shown]
	v_fma_f64 v[12:13], v[18:19], s[28:29], -v[12:13]
	v_fma_f64 v[16:17], v[18:19], s[2:3], -v[90:91]
	v_mul_f64 v[90:91], v[58:59], s[34:35]
	v_mul_f64 v[18:19], v[42:43], s[34:35]
	v_add_f64 v[92:93], v[116:117], v[92:93]
	v_add_f64 v[6:7], v[6:7], v[104:105]
	;; [unrolled: 1-line block ×3, first 2 shown]
	v_mul_f64 v[104:105], v[32:33], s[36:37]
	v_add_f64 v[96:97], v[96:97], v[112:113]
	v_add_f64 v[8:9], v[114:115], v[8:9]
	;; [unrolled: 1-line block ×3, first 2 shown]
	v_fma_f64 v[110:111], v[24:25], s[4:5], -v[120:121]
	v_fma_f64 v[112:113], v[24:25], s[16:17], -v[22:23]
	v_fma_f64 v[114:115], v[26:27], s[4:5], v[122:123]
	v_fma_f64 v[118:119], v[26:27], s[16:17], v[20:21]
	v_mul_f64 v[32:33], v[32:33], s[34:35]
	v_add_f64 v[10:11], v[12:13], v[10:11]
	v_mul_f64 v[12:13], v[28:29], s[34:35]
	v_fma_f64 v[120:121], v[24:25], s[4:5], v[120:121]
	v_fma_f64 v[122:123], v[26:27], s[4:5], -v[122:123]
	v_mul_f64 v[28:29], v[28:29], s[36:37]
	v_add_f64 v[2:3], v[14:15], v[2:3]
	v_fma_f64 v[14:15], v[26:27], s[16:17], -v[20:21]
	v_add_f64 v[0:1], v[16:17], v[0:1]
	v_fma_f64 v[22:23], v[24:25], s[16:17], v[22:23]
	v_fma_f64 v[16:17], v[44:45], s[28:29], -v[90:91]
	v_fma_f64 v[90:91], v[44:45], s[28:29], v[90:91]
	v_mul_f64 v[24:25], v[42:43], s[18:19]
	v_fma_f64 v[20:21], v[46:47], s[28:29], v[18:19]
	v_fma_f64 v[26:27], v[38:39], s[14:15], -v[104:105]
	v_fma_f64 v[104:105], v[38:39], s[14:15], v[104:105]
	v_fma_f64 v[18:19], v[46:47], s[28:29], -v[18:19]
	v_add_f64 v[6:7], v[110:111], v[6:7]
	v_add_f64 v[4:5], v[112:113], v[4:5]
	v_add_f64 v[108:109], v[114:115], v[108:109]
	v_add_f64 v[8:9], v[118:119], v[8:9]
	v_fma_f64 v[106:107], v[38:39], s[28:29], -v[32:33]
	v_mul_f64 v[112:113], v[30:31], s[20:21]
	v_fma_f64 v[110:111], v[36:37], s[28:29], v[12:13]
	v_add_f64 v[96:97], v[120:121], v[96:97]
	v_add_f64 v[10:11], v[122:123], v[10:11]
	v_fma_f64 v[114:115], v[36:37], s[14:15], v[28:29]
	v_fma_f64 v[32:33], v[38:39], s[28:29], v[32:33]
	v_mul_f64 v[38:39], v[34:35], s[24:25]
	v_fma_f64 v[28:29], v[36:37], s[14:15], -v[28:29]
	v_mul_f64 v[34:35], v[34:35], s[26:27]
	v_fma_f64 v[12:13], v[36:37], s[28:29], -v[12:13]
	v_mul_f64 v[36:37], v[30:31], s[26:27]
	v_add_f64 v[0:1], v[14:15], v[0:1]
	v_add_f64 v[2:3], v[22:23], v[2:3]
	v_mul_f64 v[22:23], v[58:59], s[18:19]
	v_mul_f64 v[14:15], v[30:31], s[24:25]
	;; [unrolled: 1-line block ×3, first 2 shown]
	v_fma_f64 v[118:119], v[46:47], s[2:3], v[24:25]
	v_add_f64 v[6:7], v[26:27], v[6:7]
	v_mul_f64 v[26:27], v[42:43], s[26:27]
	v_fma_f64 v[24:25], v[46:47], s[2:3], -v[24:25]
	v_add_f64 v[4:5], v[106:107], v[4:5]
	v_fma_f64 v[106:107], v[74:75], s[2:3], -v[112:113]
	v_add_f64 v[8:9], v[110:111], v[8:9]
	v_add_f64 v[96:97], v[104:105], v[96:97]
	v_fma_f64 v[112:113], v[74:75], s[2:3], v[112:113]
	v_add_f64 v[108:109], v[114:115], v[108:109]
	v_mul_f64 v[114:115], v[58:59], s[12:13]
	v_fma_f64 v[104:105], v[40:41], s[16:17], -v[38:39]
	v_add_f64 v[10:11], v[28:29], v[10:11]
	v_fma_f64 v[28:29], v[40:41], s[14:15], -v[34:35]
	v_mul_f64 v[58:59], v[58:59], s[22:23]
	v_fma_f64 v[38:39], v[40:41], s[16:17], v[38:39]
	v_fma_f64 v[34:35], v[40:41], s[14:15], v[34:35]
	;; [unrolled: 1-line block ×3, first 2 shown]
	v_fma_f64 v[36:37], v[74:75], s[14:15], -v[36:37]
	v_add_f64 v[0:1], v[12:13], v[0:1]
	v_add_f64 v[2:3], v[32:33], v[2:3]
	v_fma_f64 v[32:33], v[74:75], s[16:17], v[14:15]
	v_fma_f64 v[14:15], v[74:75], s[16:17], -v[14:15]
	v_fma_f64 v[74:75], v[44:45], s[2:3], -v[22:23]
	v_fma_f64 v[116:117], v[44:45], s[2:3], v[22:23]
	v_add_f64 v[12:13], v[98:99], v[72:73]
	v_fma_f64 v[72:73], v[44:45], s[14:15], -v[30:31]
	v_fma_f64 v[22:23], v[46:47], s[14:15], -v[26:27]
	v_fma_f64 v[30:31], v[44:45], s[14:15], v[30:31]
	v_add_f64 v[82:83], v[106:107], v[82:83]
	v_mul_f64 v[110:111], v[42:43], s[12:13]
	v_mul_f64 v[42:43], v[42:43], s[22:23]
	v_fma_f64 v[122:123], v[44:45], s[0:1], v[114:115]
	v_fma_f64 v[120:121], v[46:47], s[14:15], v[26:27]
	v_add_f64 v[26:27], v[104:105], v[6:7]
	v_add_f64 v[28:29], v[28:29], v[4:5]
	v_fma_f64 v[124:125], v[44:45], s[4:5], v[58:59]
	v_add_f64 v[38:39], v[38:39], v[96:97]
	v_fma_f64 v[96:97], v[44:45], s[0:1], -v[114:115]
	v_add_f64 v[8:9], v[40:41], v[8:9]
	v_add_f64 v[40:41], v[112:113], v[92:93]
	v_fma_f64 v[44:45], v[44:45], s[4:5], -v[58:59]
	v_add_f64 v[58:59], v[36:37], v[0:1]
	v_add_f64 v[32:33], v[32:33], v[108:109]
	;; [unrolled: 1-line block ×9, first 2 shown]
	v_fma_f64 v[98:99], v[46:47], s[0:1], -v[110:111]
	v_fma_f64 v[104:105], v[46:47], s[4:5], -v[42:43]
	v_fma_f64 v[92:93], v[46:47], s[0:1], v[110:111]
	v_fma_f64 v[42:43], v[46:47], s[4:5], v[42:43]
	v_add_f64 v[46:47], v[34:35], v[2:3]
	v_add_f64 v[2:3], v[20:21], v[88:89]
	;; [unrolled: 1-line block ×7, first 2 shown]
	buffer_load_dword v44, off, s[48:51], 0 offset:760 ; 4-byte Folded Reload
	v_add_f64 v[16:17], v[122:123], v[32:33]
	v_add_f64 v[30:31], v[118:119], v[80:81]
	v_add_f64 v[32:33], v[72:73], v[82:83]
	v_add_f64 v[36:37], v[96:97], v[106:107]
	v_add_f64 v[18:19], v[98:99], v[26:27]
	v_add_f64 v[26:27], v[70:71], v[128:129]
	v_add_f64 v[22:23], v[104:105], v[28:29]
	v_add_f64 v[28:29], v[74:75], v[78:79]
	v_add_f64 v[38:39], v[92:93], v[38:39]
	v_add_f64 v[42:43], v[42:43], v[46:47]
	s_waitcnt vmcnt(0)
	v_lshlrev_b32_e32 v44, 4, v44
	ds_write_b128 v44, v[24:27]
	ds_write_b128 v44, v[20:23] offset:16
	ds_write_b128 v44, v[16:19] offset:32
	;; [unrolled: 1-line block ×12, first 2 shown]
.LBB0_13:
	s_or_b32 exec_lo, exec_lo, s33
	s_waitcnt lgkmcnt(0)
	s_barrier
	buffer_gl0_inv
	ds_read_b128 v[0:3], v192 offset:9360
	ds_read_b128 v[4:7], v192 offset:7488
	s_clause 0x3
	buffer_load_dword v10, off, s[48:51], 0 offset:512
	buffer_load_dword v11, off, s[48:51], 0 offset:516
	;; [unrolled: 1-line block ×4, first 2 shown]
	s_mov_b32 s0, 0xe8584caa
	s_mov_b32 s1, 0xbfebb67a
	;; [unrolled: 1-line block ×8, first 2 shown]
	s_waitcnt vmcnt(0) lgkmcnt(1)
	v_mul_f64 v[8:9], v[12:13], v[2:3]
	v_fma_f64 v[16:17], v[10:11], v[0:1], v[8:9]
	v_mul_f64 v[0:1], v[12:13], v[0:1]
	v_fma_f64 v[18:19], v[10:11], v[2:3], -v[0:1]
	ds_read_b128 v[0:3], v192 offset:18720
	ds_read_b128 v[8:11], v192 offset:20592
	s_clause 0x3
	buffer_load_dword v22, off, s[48:51], 0 offset:480
	buffer_load_dword v23, off, s[48:51], 0 offset:484
	;; [unrolled: 1-line block ×4, first 2 shown]
	s_waitcnt vmcnt(0) lgkmcnt(1)
	v_mul_f64 v[12:13], v[24:25], v[2:3]
	v_fma_f64 v[20:21], v[22:23], v[0:1], v[12:13]
	v_mul_f64 v[0:1], v[24:25], v[0:1]
	v_fma_f64 v[22:23], v[22:23], v[2:3], -v[0:1]
	ds_read_b128 v[0:3], v192 offset:11232
	ds_read_b128 v[12:15], v192 offset:13104
	s_clause 0x3
	buffer_load_dword v30, off, s[48:51], 0 offset:656
	buffer_load_dword v31, off, s[48:51], 0 offset:660
	;; [unrolled: 1-line block ×4, first 2 shown]
	s_waitcnt vmcnt(0) lgkmcnt(1)
	v_mul_f64 v[24:25], v[32:33], v[2:3]
	v_fma_f64 v[28:29], v[30:31], v[0:1], v[24:25]
	s_clause 0x3
	buffer_load_dword v24, off, s[48:51], 0 offset:640
	buffer_load_dword v25, off, s[48:51], 0 offset:644
	;; [unrolled: 1-line block ×4, first 2 shown]
	v_mul_f64 v[0:1], v[32:33], v[0:1]
	v_fma_f64 v[30:31], v[30:31], v[2:3], -v[0:1]
	s_waitcnt vmcnt(0)
	v_mul_f64 v[0:1], v[26:27], v[10:11]
	v_fma_f64 v[32:33], v[24:25], v[8:9], v[0:1]
	v_mul_f64 v[0:1], v[26:27], v[8:9]
	v_fma_f64 v[34:35], v[24:25], v[10:11], -v[0:1]
	s_clause 0x3
	buffer_load_dword v8, off, s[48:51], 0 offset:624
	buffer_load_dword v9, off, s[48:51], 0 offset:628
	;; [unrolled: 1-line block ×4, first 2 shown]
	s_waitcnt vmcnt(0) lgkmcnt(0)
	v_mul_f64 v[0:1], v[10:11], v[14:15]
	v_fma_f64 v[36:37], v[8:9], v[12:13], v[0:1]
	v_mul_f64 v[0:1], v[10:11], v[12:13]
	v_fma_f64 v[38:39], v[8:9], v[14:15], -v[0:1]
	ds_read_b128 v[0:3], v192 offset:22464
	ds_read_b128 v[8:11], v192 offset:24336
	s_clause 0x3
	buffer_load_dword v24, off, s[48:51], 0 offset:608
	buffer_load_dword v25, off, s[48:51], 0 offset:612
	;; [unrolled: 1-line block ×4, first 2 shown]
	s_waitcnt vmcnt(0) lgkmcnt(1)
	v_mul_f64 v[12:13], v[26:27], v[2:3]
	v_fma_f64 v[40:41], v[24:25], v[0:1], v[12:13]
	v_mul_f64 v[0:1], v[26:27], v[0:1]
	v_fma_f64 v[42:43], v[24:25], v[2:3], -v[0:1]
	ds_read_b128 v[0:3], v192 offset:14976
	ds_read_b128 v[12:15], v192 offset:16848
	s_clause 0x3
	buffer_load_dword v46, off, s[48:51], 0 offset:576
	buffer_load_dword v47, off, s[48:51], 0 offset:580
	;; [unrolled: 1-line block ×4, first 2 shown]
	s_waitcnt vmcnt(0) lgkmcnt(1)
	v_mul_f64 v[24:25], v[48:49], v[2:3]
	v_fma_f64 v[44:45], v[46:47], v[0:1], v[24:25]
	s_clause 0x3
	buffer_load_dword v24, off, s[48:51], 0 offset:560
	buffer_load_dword v25, off, s[48:51], 0 offset:564
	;; [unrolled: 1-line block ×4, first 2 shown]
	v_mul_f64 v[0:1], v[48:49], v[0:1]
	v_fma_f64 v[46:47], v[46:47], v[2:3], -v[0:1]
	s_waitcnt vmcnt(0)
	v_mul_f64 v[0:1], v[26:27], v[10:11]
	v_fma_f64 v[48:49], v[24:25], v[8:9], v[0:1]
	v_mul_f64 v[0:1], v[26:27], v[8:9]
	v_fma_f64 v[50:51], v[24:25], v[10:11], -v[0:1]
	s_clause 0x3
	buffer_load_dword v8, off, s[48:51], 0 offset:528
	buffer_load_dword v9, off, s[48:51], 0 offset:532
	;; [unrolled: 1-line block ×4, first 2 shown]
	s_waitcnt vmcnt(0) lgkmcnt(0)
	v_mul_f64 v[0:1], v[10:11], v[14:15]
	v_fma_f64 v[52:53], v[8:9], v[12:13], v[0:1]
	v_mul_f64 v[0:1], v[10:11], v[12:13]
	v_fma_f64 v[54:55], v[8:9], v[14:15], -v[0:1]
	ds_read_b128 v[0:3], v192 offset:26208
	s_clause 0x3
	buffer_load_dword v10, off, s[48:51], 0 offset:544
	buffer_load_dword v11, off, s[48:51], 0 offset:548
	;; [unrolled: 1-line block ×4, first 2 shown]
	s_waitcnt vmcnt(0) lgkmcnt(0)
	v_mul_f64 v[8:9], v[12:13], v[2:3]
	v_fma_f64 v[56:57], v[10:11], v[0:1], v[8:9]
	v_mul_f64 v[0:1], v[12:13], v[0:1]
	v_add_f64 v[12:13], v[16:17], v[20:21]
	v_fma_f64 v[58:59], v[10:11], v[2:3], -v[0:1]
	ds_read_b128 v[0:3], v192
	ds_read_b128 v[8:11], v192 offset:1872
	s_waitcnt lgkmcnt(1)
	v_fma_f64 v[14:15], v[12:13], -0.5, v[0:1]
	v_add_f64 v[12:13], v[18:19], v[22:23]
	v_add_f64 v[0:1], v[0:1], v[16:17]
	v_fma_f64 v[24:25], v[12:13], -0.5, v[2:3]
	v_add_f64 v[2:3], v[2:3], v[18:19]
	v_add_f64 v[18:19], v[18:19], -v[22:23]
	v_add_f64 v[0:1], v[0:1], v[20:21]
	v_add_f64 v[20:21], v[16:17], -v[20:21]
	v_add_f64 v[2:3], v[2:3], v[22:23]
	v_fma_f64 v[12:13], v[18:19], s[0:1], v[14:15]
	v_fma_f64 v[16:17], v[18:19], s[2:3], v[14:15]
	;; [unrolled: 1-line block ×4, first 2 shown]
	ds_read_b128 v[20:23], v192 offset:3744
	ds_read_b128 v[24:27], v192 offset:5616
	s_waitcnt lgkmcnt(0)
	s_barrier
	buffer_gl0_inv
	ds_write_b128 v154, v[0:3]
	ds_write_b128 v154, v[12:15] offset:208
	ds_write_b128 v154, v[16:19] offset:416
	v_add_f64 v[0:1], v[28:29], v[32:33]
	v_add_f64 v[16:17], v[28:29], -v[32:33]
	v_fma_f64 v[12:13], v[0:1], -0.5, v[8:9]
	v_add_f64 v[0:1], v[30:31], v[34:35]
	v_add_f64 v[8:9], v[8:9], v[28:29]
	v_fma_f64 v[14:15], v[0:1], -0.5, v[10:11]
	v_add_f64 v[0:1], v[10:11], v[30:31]
	v_add_f64 v[10:11], v[30:31], -v[34:35]
	v_add_f64 v[2:3], v[0:1], v[34:35]
	v_add_f64 v[0:1], v[8:9], v[32:33]
	v_fma_f64 v[8:9], v[10:11], s[0:1], v[12:13]
	v_fma_f64 v[12:13], v[10:11], s[2:3], v[12:13]
	;; [unrolled: 1-line block ×4, first 2 shown]
	ds_write_b128 v155, v[0:3]
	ds_write_b128 v155, v[8:11] offset:208
	ds_write_b128 v155, v[12:15] offset:416
	buffer_load_dword v154, off, s[48:51], 0 offset:748 ; 4-byte Folded Reload
	v_add_f64 v[0:1], v[36:37], v[40:41]
	v_add_f64 v[8:9], v[20:21], v[36:37]
	v_add_f64 v[12:13], v[38:39], -v[42:43]
	v_add_f64 v[16:17], v[36:37], -v[40:41]
	v_fma_f64 v[10:11], v[0:1], -0.5, v[20:21]
	v_add_f64 v[0:1], v[38:39], v[42:43]
	v_fma_f64 v[14:15], v[0:1], -0.5, v[22:23]
	v_add_f64 v[0:1], v[22:23], v[38:39]
	v_add_f64 v[2:3], v[0:1], v[42:43]
	;; [unrolled: 1-line block ×3, first 2 shown]
	v_fma_f64 v[8:9], v[12:13], s[0:1], v[10:11]
	v_fma_f64 v[12:13], v[12:13], s[2:3], v[10:11]
	;; [unrolled: 1-line block ×4, first 2 shown]
	v_add_f64 v[16:17], v[44:45], -v[48:49]
	s_waitcnt vmcnt(0)
	ds_write_b128 v154, v[0:3]
	ds_write_b128 v154, v[8:11] offset:208
	ds_write_b128 v154, v[12:15] offset:416
	buffer_load_dword v155, off, s[48:51], 0 offset:744 ; 4-byte Folded Reload
	v_add_f64 v[0:1], v[44:45], v[48:49]
	v_add_f64 v[8:9], v[24:25], v[44:45]
	v_add_f64 v[12:13], v[46:47], -v[50:51]
	v_fma_f64 v[10:11], v[0:1], -0.5, v[24:25]
	v_add_f64 v[0:1], v[46:47], v[50:51]
	v_fma_f64 v[14:15], v[0:1], -0.5, v[26:27]
	v_add_f64 v[0:1], v[26:27], v[46:47]
	v_add_f64 v[2:3], v[0:1], v[50:51]
	;; [unrolled: 1-line block ×3, first 2 shown]
	v_fma_f64 v[8:9], v[12:13], s[0:1], v[10:11]
	v_fma_f64 v[12:13], v[12:13], s[2:3], v[10:11]
	;; [unrolled: 1-line block ×4, first 2 shown]
	s_waitcnt vmcnt(0)
	ds_write_b128 v155, v[0:3]
	ds_write_b128 v155, v[8:11] offset:208
	ds_write_b128 v155, v[12:15] offset:416
	buffer_load_dword v154, off, s[48:51], 0 offset:740 ; 4-byte Folded Reload
	v_add_f64 v[0:1], v[52:53], v[56:57]
	v_add_f64 v[12:13], v[52:53], -v[56:57]
	v_fma_f64 v[8:9], v[0:1], -0.5, v[4:5]
	v_add_f64 v[0:1], v[54:55], v[58:59]
	v_add_f64 v[4:5], v[4:5], v[52:53]
	v_fma_f64 v[10:11], v[0:1], -0.5, v[6:7]
	v_add_f64 v[0:1], v[6:7], v[54:55]
	v_add_f64 v[6:7], v[54:55], -v[58:59]
	v_add_f64 v[2:3], v[0:1], v[58:59]
	v_add_f64 v[0:1], v[4:5], v[56:57]
	v_fma_f64 v[4:5], v[6:7], s[0:1], v[8:9]
	v_fma_f64 v[8:9], v[6:7], s[2:3], v[8:9]
	;; [unrolled: 1-line block ×4, first 2 shown]
	s_waitcnt vmcnt(0)
	ds_write_b128 v154, v[0:3]
	ds_write_b128 v154, v[4:7] offset:208
	ds_write_b128 v154, v[8:11] offset:416
	s_waitcnt lgkmcnt(0)
	s_barrier
	buffer_gl0_inv
	ds_read_b128 v[0:3], v192 offset:9360
	ds_read_b128 v[4:7], v192 offset:7488
	s_waitcnt lgkmcnt(1)
	v_mul_f64 v[8:9], v[170:171], v[2:3]
	v_fma_f64 v[16:17], v[168:169], v[0:1], v[8:9]
	v_mul_f64 v[0:1], v[170:171], v[0:1]
	v_fma_f64 v[18:19], v[168:169], v[2:3], -v[0:1]
	ds_read_b128 v[0:3], v192 offset:18720
	ds_read_b128 v[8:11], v192 offset:20592
	s_waitcnt lgkmcnt(1)
	v_mul_f64 v[12:13], v[166:167], v[2:3]
	v_fma_f64 v[20:21], v[164:165], v[0:1], v[12:13]
	v_mul_f64 v[0:1], v[166:167], v[0:1]
	v_fma_f64 v[22:23], v[164:165], v[2:3], -v[0:1]
	ds_read_b128 v[0:3], v192 offset:11232
	ds_read_b128 v[12:15], v192 offset:13104
	s_clause 0x3
	buffer_load_dword v30, off, s[48:51], 0 offset:688
	buffer_load_dword v31, off, s[48:51], 0 offset:692
	;; [unrolled: 1-line block ×4, first 2 shown]
	s_waitcnt vmcnt(0) lgkmcnt(1)
	v_mul_f64 v[24:25], v[32:33], v[2:3]
	v_fma_f64 v[28:29], v[30:31], v[0:1], v[24:25]
	v_mul_f64 v[0:1], v[32:33], v[0:1]
	v_fma_f64 v[30:31], v[30:31], v[2:3], -v[0:1]
	v_mul_f64 v[0:1], v[162:163], v[10:11]
	v_fma_f64 v[32:33], v[160:161], v[8:9], v[0:1]
	v_mul_f64 v[0:1], v[162:163], v[8:9]
	v_fma_f64 v[34:35], v[160:161], v[10:11], -v[0:1]
	s_clause 0x3
	buffer_load_dword v8, off, s[48:51], 0 offset:672
	buffer_load_dword v9, off, s[48:51], 0 offset:676
	;; [unrolled: 1-line block ×4, first 2 shown]
	s_waitcnt vmcnt(0) lgkmcnt(0)
	v_mul_f64 v[0:1], v[10:11], v[14:15]
	v_fma_f64 v[36:37], v[8:9], v[12:13], v[0:1]
	v_mul_f64 v[0:1], v[10:11], v[12:13]
	v_fma_f64 v[38:39], v[8:9], v[14:15], -v[0:1]
	ds_read_b128 v[0:3], v192 offset:22464
	ds_read_b128 v[8:11], v192 offset:24336
	s_waitcnt lgkmcnt(1)
	v_mul_f64 v[12:13], v[158:159], v[2:3]
	v_fma_f64 v[40:41], v[156:157], v[0:1], v[12:13]
	v_mul_f64 v[0:1], v[158:159], v[0:1]
	v_fma_f64 v[42:43], v[156:157], v[2:3], -v[0:1]
	ds_read_b128 v[0:3], v192 offset:14976
	ds_read_b128 v[12:15], v192 offset:16848
	s_waitcnt lgkmcnt(1)
	v_mul_f64 v[24:25], v[182:183], v[2:3]
	v_fma_f64 v[44:45], v[180:181], v[0:1], v[24:25]
	v_mul_f64 v[0:1], v[182:183], v[0:1]
	v_fma_f64 v[46:47], v[180:181], v[2:3], -v[0:1]
	v_mul_f64 v[0:1], v[178:179], v[10:11]
	v_fma_f64 v[48:49], v[176:177], v[8:9], v[0:1]
	v_mul_f64 v[0:1], v[178:179], v[8:9]
	v_fma_f64 v[50:51], v[176:177], v[10:11], -v[0:1]
	s_waitcnt lgkmcnt(0)
	v_mul_f64 v[0:1], v[190:191], v[14:15]
	v_fma_f64 v[52:53], v[188:189], v[12:13], v[0:1]
	v_mul_f64 v[0:1], v[190:191], v[12:13]
	v_add_f64 v[12:13], v[16:17], v[20:21]
	v_fma_f64 v[54:55], v[188:189], v[14:15], -v[0:1]
	ds_read_b128 v[0:3], v192 offset:26208
	s_waitcnt lgkmcnt(0)
	v_mul_f64 v[8:9], v[186:187], v[2:3]
	v_fma_f64 v[56:57], v[184:185], v[0:1], v[8:9]
	v_mul_f64 v[0:1], v[186:187], v[0:1]
	v_fma_f64 v[58:59], v[184:185], v[2:3], -v[0:1]
	ds_read_b128 v[0:3], v192
	ds_read_b128 v[8:11], v192 offset:1872
	s_waitcnt lgkmcnt(1)
	v_fma_f64 v[14:15], v[12:13], -0.5, v[0:1]
	v_add_f64 v[12:13], v[18:19], v[22:23]
	v_add_f64 v[0:1], v[0:1], v[16:17]
	v_fma_f64 v[24:25], v[12:13], -0.5, v[2:3]
	v_add_f64 v[2:3], v[2:3], v[18:19]
	v_add_f64 v[18:19], v[18:19], -v[22:23]
	v_add_f64 v[0:1], v[0:1], v[20:21]
	v_add_f64 v[20:21], v[16:17], -v[20:21]
	v_add_f64 v[2:3], v[2:3], v[22:23]
	v_fma_f64 v[12:13], v[18:19], s[0:1], v[14:15]
	v_fma_f64 v[16:17], v[18:19], s[2:3], v[14:15]
	;; [unrolled: 1-line block ×4, first 2 shown]
	ds_read_b128 v[20:23], v192 offset:3744
	ds_read_b128 v[24:27], v192 offset:5616
	s_waitcnt lgkmcnt(0)
	s_barrier
	buffer_gl0_inv
	buffer_load_dword v155, off, s[48:51], 0 offset:732 ; 4-byte Folded Reload
	s_waitcnt vmcnt(0)
	ds_write_b128 v155, v[0:3]
	ds_write_b128 v155, v[12:15] offset:624
	ds_write_b128 v155, v[16:19] offset:1248
	buffer_load_dword v154, off, s[48:51], 0 offset:724 ; 4-byte Folded Reload
	v_add_f64 v[0:1], v[28:29], v[32:33]
	v_add_f64 v[16:17], v[28:29], -v[32:33]
	v_fma_f64 v[12:13], v[0:1], -0.5, v[8:9]
	v_add_f64 v[0:1], v[30:31], v[34:35]
	v_add_f64 v[8:9], v[8:9], v[28:29]
	v_fma_f64 v[14:15], v[0:1], -0.5, v[10:11]
	v_add_f64 v[0:1], v[10:11], v[30:31]
	v_add_f64 v[10:11], v[30:31], -v[34:35]
	v_add_f64 v[2:3], v[0:1], v[34:35]
	v_add_f64 v[0:1], v[8:9], v[32:33]
	v_fma_f64 v[8:9], v[10:11], s[0:1], v[12:13]
	v_fma_f64 v[12:13], v[10:11], s[2:3], v[12:13]
	;; [unrolled: 1-line block ×4, first 2 shown]
	v_add_f64 v[16:17], v[36:37], -v[40:41]
	s_waitcnt vmcnt(0)
	ds_write_b128 v154, v[0:3]
	ds_write_b128 v154, v[8:11] offset:624
	ds_write_b128 v154, v[12:15] offset:1248
	buffer_load_dword v155, off, s[48:51], 0 offset:716 ; 4-byte Folded Reload
	v_add_f64 v[0:1], v[36:37], v[40:41]
	v_add_f64 v[8:9], v[20:21], v[36:37]
	v_add_f64 v[12:13], v[38:39], -v[42:43]
	v_fma_f64 v[10:11], v[0:1], -0.5, v[20:21]
	v_add_f64 v[0:1], v[38:39], v[42:43]
	v_fma_f64 v[14:15], v[0:1], -0.5, v[22:23]
	v_add_f64 v[0:1], v[22:23], v[38:39]
	v_add_f64 v[2:3], v[0:1], v[42:43]
	;; [unrolled: 1-line block ×3, first 2 shown]
	v_fma_f64 v[8:9], v[12:13], s[0:1], v[10:11]
	v_fma_f64 v[12:13], v[12:13], s[2:3], v[10:11]
	;; [unrolled: 1-line block ×4, first 2 shown]
	v_add_f64 v[16:17], v[44:45], -v[48:49]
	s_waitcnt vmcnt(0)
	ds_write_b128 v155, v[0:3]
	ds_write_b128 v155, v[8:11] offset:624
	ds_write_b128 v155, v[12:15] offset:1248
	buffer_load_dword v154, off, s[48:51], 0 offset:712 ; 4-byte Folded Reload
	v_add_f64 v[0:1], v[44:45], v[48:49]
	v_add_f64 v[8:9], v[24:25], v[44:45]
	v_add_f64 v[12:13], v[46:47], -v[50:51]
	v_fma_f64 v[10:11], v[0:1], -0.5, v[24:25]
	v_add_f64 v[0:1], v[46:47], v[50:51]
	v_fma_f64 v[14:15], v[0:1], -0.5, v[26:27]
	v_add_f64 v[0:1], v[26:27], v[46:47]
	v_add_f64 v[2:3], v[0:1], v[50:51]
	;; [unrolled: 1-line block ×3, first 2 shown]
	v_fma_f64 v[8:9], v[12:13], s[0:1], v[10:11]
	v_fma_f64 v[12:13], v[12:13], s[2:3], v[10:11]
	;; [unrolled: 1-line block ×4, first 2 shown]
	s_waitcnt vmcnt(0)
	ds_write_b128 v154, v[0:3]
	ds_write_b128 v154, v[8:11] offset:624
	ds_write_b128 v154, v[12:15] offset:1248
	buffer_load_dword v155, off, s[48:51], 0 offset:708 ; 4-byte Folded Reload
	v_add_f64 v[0:1], v[52:53], v[56:57]
	v_add_f64 v[12:13], v[52:53], -v[56:57]
	v_fma_f64 v[8:9], v[0:1], -0.5, v[4:5]
	v_add_f64 v[0:1], v[54:55], v[58:59]
	v_add_f64 v[4:5], v[4:5], v[52:53]
	v_fma_f64 v[10:11], v[0:1], -0.5, v[6:7]
	v_add_f64 v[0:1], v[6:7], v[54:55]
	v_add_f64 v[6:7], v[54:55], -v[58:59]
	v_add_f64 v[2:3], v[0:1], v[58:59]
	v_add_f64 v[0:1], v[4:5], v[56:57]
	v_fma_f64 v[4:5], v[6:7], s[0:1], v[8:9]
	v_fma_f64 v[8:9], v[6:7], s[2:3], v[8:9]
	;; [unrolled: 1-line block ×4, first 2 shown]
	s_waitcnt vmcnt(0)
	ds_write_b128 v155, v[0:3]
	ds_write_b128 v155, v[4:7] offset:624
	ds_write_b128 v155, v[8:11] offset:1248
	s_waitcnt lgkmcnt(0)
	s_barrier
	buffer_gl0_inv
	ds_read_b128 v[0:3], v192 offset:9360
	ds_read_b128 v[4:7], v192 offset:7488
	s_waitcnt lgkmcnt(1)
	v_mul_f64 v[8:9], v[102:103], v[2:3]
	v_fma_f64 v[16:17], v[100:101], v[0:1], v[8:9]
	v_mul_f64 v[0:1], v[102:103], v[0:1]
	v_fma_f64 v[18:19], v[100:101], v[2:3], -v[0:1]
	ds_read_b128 v[0:3], v192 offset:11232
	ds_read_b128 v[8:11], v192 offset:13104
	s_waitcnt lgkmcnt(1)
	v_mul_f64 v[12:13], v[102:103], v[2:3]
	v_fma_f64 v[20:21], v[100:101], v[0:1], v[12:13]
	v_mul_f64 v[0:1], v[102:103], v[0:1]
	v_fma_f64 v[22:23], v[100:101], v[2:3], -v[0:1]
	;; [unrolled: 7-line block ×3, first 2 shown]
	s_waitcnt lgkmcnt(0)
	v_mul_f64 v[0:1], v[174:175], v[14:15]
	v_fma_f64 v[28:29], v[172:173], v[12:13], v[0:1]
	v_mul_f64 v[0:1], v[174:175], v[12:13]
	v_fma_f64 v[30:31], v[172:173], v[14:15], -v[0:1]
	v_mul_f64 v[0:1], v[230:231], v[10:11]
	v_fma_f64 v[36:37], v[228:229], v[8:9], v[0:1]
	v_mul_f64 v[0:1], v[230:231], v[8:9]
	v_fma_f64 v[38:39], v[228:229], v[10:11], -v[0:1]
	ds_read_b128 v[0:3], v192 offset:22464
	ds_read_b128 v[8:11], v192 offset:24336
	s_waitcnt lgkmcnt(1)
	v_mul_f64 v[12:13], v[226:227], v[2:3]
	v_fma_f64 v[40:41], v[224:225], v[0:1], v[12:13]
	v_mul_f64 v[0:1], v[226:227], v[0:1]
	v_add_f64 v[60:61], v[36:37], v[40:41]
	v_fma_f64 v[42:43], v[224:225], v[2:3], -v[0:1]
	ds_read_b128 v[0:3], v192 offset:14976
	ds_read_b128 v[12:15], v192 offset:16848
	s_waitcnt lgkmcnt(1)
	v_mul_f64 v[32:33], v[238:239], v[2:3]
	v_add_f64 v[62:63], v[38:39], v[42:43]
	v_fma_f64 v[44:45], v[236:237], v[0:1], v[32:33]
	v_mul_f64 v[0:1], v[238:239], v[0:1]
	v_fma_f64 v[46:47], v[236:237], v[2:3], -v[0:1]
	v_mul_f64 v[0:1], v[234:235], v[10:11]
	v_fma_f64 v[48:49], v[232:233], v[8:9], v[0:1]
	v_mul_f64 v[0:1], v[234:235], v[8:9]
	v_fma_f64 v[50:51], v[232:233], v[10:11], -v[0:1]
	s_waitcnt lgkmcnt(0)
	v_mul_f64 v[0:1], v[246:247], v[14:15]
	v_fma_f64 v[52:53], v[244:245], v[12:13], v[0:1]
	v_mul_f64 v[0:1], v[246:247], v[12:13]
	v_add_f64 v[12:13], v[16:17], v[24:25]
	v_fma_f64 v[54:55], v[244:245], v[14:15], -v[0:1]
	ds_read_b128 v[0:3], v192 offset:26208
	s_waitcnt lgkmcnt(0)
	v_mul_f64 v[8:9], v[242:243], v[2:3]
	v_fma_f64 v[56:57], v[240:241], v[0:1], v[8:9]
	v_mul_f64 v[0:1], v[242:243], v[0:1]
	v_fma_f64 v[58:59], v[240:241], v[2:3], -v[0:1]
	ds_read_b128 v[0:3], v192
	ds_read_b128 v[8:11], v192 offset:1872
	s_waitcnt lgkmcnt(1)
	v_fma_f64 v[14:15], v[12:13], -0.5, v[0:1]
	v_add_f64 v[12:13], v[18:19], v[26:27]
	v_add_f64 v[0:1], v[0:1], v[16:17]
	v_fma_f64 v[32:33], v[12:13], -0.5, v[2:3]
	v_add_f64 v[2:3], v[2:3], v[18:19]
	v_add_f64 v[18:19], v[18:19], -v[26:27]
	v_add_f64 v[0:1], v[0:1], v[24:25]
	v_add_f64 v[24:25], v[16:17], -v[24:25]
	v_add_f64 v[2:3], v[2:3], v[26:27]
	v_fma_f64 v[12:13], v[18:19], s[0:1], v[14:15]
	v_fma_f64 v[16:17], v[18:19], s[2:3], v[14:15]
	;; [unrolled: 1-line block ×4, first 2 shown]
	v_add_f64 v[24:25], v[20:21], v[28:29]
	v_add_f64 v[26:27], v[22:23], v[30:31]
	s_waitcnt lgkmcnt(0)
	v_fma_f64 v[24:25], v[24:25], -0.5, v[8:9]
	v_add_f64 v[8:9], v[8:9], v[20:21]
	v_fma_f64 v[26:27], v[26:27], -0.5, v[10:11]
	v_add_f64 v[10:11], v[10:11], v[22:23]
	v_add_f64 v[22:23], v[22:23], -v[30:31]
	v_add_f64 v[8:9], v[8:9], v[28:29]
	v_add_f64 v[28:29], v[20:21], -v[28:29]
	v_add_f64 v[10:11], v[10:11], v[30:31]
	v_fma_f64 v[20:21], v[22:23], s[0:1], v[24:25]
	v_fma_f64 v[24:25], v[22:23], s[2:3], v[24:25]
	;; [unrolled: 1-line block ×4, first 2 shown]
	ds_read_b128 v[28:31], v192 offset:3744
	ds_read_b128 v[32:35], v192 offset:5616
	s_waitcnt lgkmcnt(0)
	s_barrier
	buffer_gl0_inv
	ds_write_b128 v192, v[0:3]
	ds_write_b128 v192, v[12:15] offset:1872
	ds_write_b128 v192, v[16:19] offset:3744
	;; [unrolled: 1-line block ×5, first 2 shown]
	buffer_load_dword v0, off, s[48:51], 0 offset:736 ; 4-byte Folded Reload
	v_add_f64 v[12:13], v[46:47], -v[50:51]
	v_fma_f64 v[62:63], v[62:63], -0.5, v[30:31]
	v_add_f64 v[30:31], v[30:31], v[38:39]
	v_fma_f64 v[60:61], v[60:61], -0.5, v[28:29]
	v_add_f64 v[28:29], v[28:29], v[36:37]
	v_add_f64 v[38:39], v[38:39], -v[42:43]
	v_add_f64 v[8:9], v[32:33], v[44:45]
	v_add_f64 v[16:17], v[44:45], -v[48:49]
	v_add_f64 v[20:21], v[54:55], -v[58:59]
	;; [unrolled: 1-line block ×3, first 2 shown]
	v_add_f64 v[30:31], v[30:31], v[42:43]
	v_add_f64 v[42:43], v[36:37], -v[40:41]
	v_add_f64 v[28:29], v[28:29], v[40:41]
	v_fma_f64 v[36:37], v[38:39], s[0:1], v[60:61]
	v_fma_f64 v[40:41], v[38:39], s[2:3], v[60:61]
	;; [unrolled: 1-line block ×4, first 2 shown]
	s_waitcnt vmcnt(0)
	ds_write_b128 v0, v[28:31] offset:11232
	ds_write_b128 v0, v[36:39] offset:13104
	;; [unrolled: 1-line block ×3, first 2 shown]
	v_add_f64 v[0:1], v[44:45], v[48:49]
	v_fma_f64 v[10:11], v[0:1], -0.5, v[32:33]
	v_add_f64 v[0:1], v[46:47], v[50:51]
	v_fma_f64 v[14:15], v[0:1], -0.5, v[34:35]
	v_add_f64 v[0:1], v[34:35], v[46:47]
	v_add_f64 v[2:3], v[0:1], v[50:51]
	;; [unrolled: 1-line block ×3, first 2 shown]
	v_fma_f64 v[8:9], v[12:13], s[0:1], v[10:11]
	v_fma_f64 v[12:13], v[12:13], s[2:3], v[10:11]
	;; [unrolled: 1-line block ×4, first 2 shown]
	v_add_f64 v[16:17], v[52:53], v[56:57]
	v_fma_f64 v[18:19], v[16:17], -0.5, v[4:5]
	v_add_f64 v[16:17], v[54:55], v[58:59]
	v_add_f64 v[4:5], v[4:5], v[52:53]
	v_fma_f64 v[22:23], v[16:17], -0.5, v[6:7]
	v_fma_f64 v[16:17], v[20:21], s[0:1], v[18:19]
	v_fma_f64 v[20:21], v[20:21], s[2:3], v[18:19]
	v_add_f64 v[6:7], v[6:7], v[54:55]
	v_add_f64 v[4:5], v[4:5], v[56:57]
	v_fma_f64 v[18:19], v[24:25], s[2:3], v[22:23]
	v_fma_f64 v[22:23], v[24:25], s[0:1], v[22:23]
	buffer_load_dword v24, off, s[48:51], 0 offset:728 ; 4-byte Folded Reload
	v_add_f64 v[6:7], v[6:7], v[58:59]
	s_mov_b32 s0, 0x134454ff
	s_mov_b32 s1, 0xbfee6f0e
	;; [unrolled: 1-line block ×6, first 2 shown]
	s_waitcnt vmcnt(0)
	ds_write_b128 v24, v[0:3] offset:16848
	ds_write_b128 v24, v[8:11] offset:18720
	ds_write_b128 v24, v[12:15] offset:20592
	buffer_load_dword v0, off, s[48:51], 0 offset:720 ; 4-byte Folded Reload
	s_waitcnt vmcnt(0)
	ds_write_b128 v0, v[4:7] offset:22464
	ds_write_b128 v0, v[16:19] offset:24336
	;; [unrolled: 1-line block ×3, first 2 shown]
	s_waitcnt lgkmcnt(0)
	s_barrier
	buffer_gl0_inv
	ds_read_b128 v[6:9], v192 offset:11232
	ds_read_b128 v[0:3], v192 offset:13104
	;; [unrolled: 1-line block ×4, first 2 shown]
	s_waitcnt lgkmcnt(3)
	v_mul_f64 v[4:5], v[254:255], v[8:9]
	v_mul_f64 v[14:15], v[254:255], v[6:7]
	v_fma_f64 v[6:7], v[252:253], v[6:7], v[4:5]
	v_fma_f64 v[4:5], v[252:253], v[8:9], -v[14:15]
	ds_read_b128 v[14:17], v192 offset:14976
	s_waitcnt lgkmcnt(2)
	v_mul_f64 v[8:9], v[250:251], v[12:13]
	v_mul_f64 v[22:23], v[250:251], v[10:11]
	v_fma_f64 v[10:11], v[248:249], v[10:11], v[8:9]
	v_fma_f64 v[8:9], v[248:249], v[12:13], -v[22:23]
	ds_read_b128 v[22:25], v192 offset:3744
	s_clause 0x3
	buffer_load_dword v28, off, s[48:51], 0 offset:496
	buffer_load_dword v29, off, s[48:51], 0 offset:500
	;; [unrolled: 1-line block ×4, first 2 shown]
	v_add_f64 v[74:75], v[4:5], -v[8:9]
	s_waitcnt vmcnt(0) lgkmcnt(2)
	v_mul_f64 v[12:13], v[30:31], v[20:21]
	v_mul_f64 v[26:27], v[30:31], v[18:19]
	v_fma_f64 v[34:35], v[28:29], v[18:19], v[12:13]
	v_fma_f64 v[36:37], v[28:29], v[20:21], -v[26:27]
	ds_read_b128 v[18:21], v192 offset:22464
	ds_read_b128 v[26:29], v192 offset:24336
	s_clause 0x3
	buffer_load_dword v30, off, s[48:51], 0 offset:592
	buffer_load_dword v31, off, s[48:51], 0 offset:596
	;; [unrolled: 1-line block ×4, first 2 shown]
	s_waitcnt vmcnt(0) lgkmcnt(1)
	v_mul_f64 v[12:13], v[32:33], v[20:21]
	v_fma_f64 v[38:39], v[30:31], v[18:19], v[12:13]
	v_mul_f64 v[12:13], v[32:33], v[18:19]
	v_fma_f64 v[40:41], v[30:31], v[20:21], -v[12:13]
	ds_read_b128 v[18:21], v192 offset:7488
	ds_read_b128 v[30:33], v192 offset:9360
	s_waitcnt lgkmcnt(1)
	v_mul_f64 v[12:13], v[202:203], v[20:21]
	v_add_f64 v[78:79], v[40:41], -v[8:9]
	v_fma_f64 v[42:43], v[200:201], v[18:19], v[12:13]
	v_mul_f64 v[12:13], v[202:203], v[18:19]
	v_fma_f64 v[44:45], v[200:201], v[20:21], -v[12:13]
	v_mul_f64 v[12:13], v[210:211], v[2:3]
	v_fma_f64 v[46:47], v[208:209], v[0:1], v[12:13]
	v_mul_f64 v[0:1], v[210:211], v[0:1]
	v_fma_f64 v[48:49], v[208:209], v[2:3], -v[0:1]
	ds_read_b128 v[0:3], v192 offset:18720
	ds_read_b128 v[18:21], v192 offset:20592
	s_waitcnt lgkmcnt(1)
	v_mul_f64 v[12:13], v[198:199], v[2:3]
	v_fma_f64 v[50:51], v[196:197], v[0:1], v[12:13]
	v_mul_f64 v[0:1], v[198:199], v[0:1]
	v_mul_f64 v[12:13], v[222:223], v[16:17]
	v_fma_f64 v[52:53], v[196:197], v[2:3], -v[0:1]
	v_mul_f64 v[0:1], v[66:67], v[28:29]
	v_mul_f64 v[2:3], v[218:219], v[30:31]
	v_fma_f64 v[62:63], v[220:221], v[14:15], v[12:13]
	s_waitcnt lgkmcnt(0)
	v_mul_f64 v[12:13], v[214:215], v[20:21]
	v_fma_f64 v[54:55], v[64:65], v[26:27], v[0:1]
	v_mul_f64 v[0:1], v[66:67], v[26:27]
	v_mul_f64 v[26:27], v[222:223], v[14:15]
	v_fma_f64 v[60:61], v[216:217], v[32:33], -v[2:3]
	v_mul_f64 v[14:15], v[214:215], v[18:19]
	v_fma_f64 v[66:67], v[212:213], v[18:19], v[12:13]
	v_add_f64 v[18:19], v[6:7], v[10:11]
	v_fma_f64 v[56:57], v[64:65], v[28:29], -v[0:1]
	v_mul_f64 v[0:1], v[218:219], v[32:33]
	v_fma_f64 v[64:65], v[220:221], v[16:17], -v[26:27]
	v_fma_f64 v[68:69], v[212:213], v[20:21], -v[14:15]
	v_add_f64 v[32:33], v[38:39], -v[10:11]
	v_add_f64 v[28:29], v[36:37], v[40:41]
	ds_read_b128 v[12:15], v192 offset:1872
	v_fma_f64 v[58:59], v[216:217], v[30:31], v[0:1]
	ds_read_b128 v[0:3], v192 offset:26208
	v_add_f64 v[30:31], v[34:35], -v[6:7]
	s_waitcnt lgkmcnt(0)
	v_mul_f64 v[16:17], v[206:207], v[2:3]
	v_mul_f64 v[26:27], v[206:207], v[0:1]
	v_add_f64 v[30:31], v[30:31], v[32:33]
	v_add_f64 v[32:33], v[36:37], -v[40:41]
	v_fma_f64 v[20:21], v[204:205], v[0:1], v[16:17]
	v_add_f64 v[16:17], v[34:35], v[38:39]
	v_fma_f64 v[70:71], v[204:205], v[2:3], -v[26:27]
	ds_read_b128 v[0:3], v192
	v_add_f64 v[26:27], v[4:5], v[8:9]
	s_waitcnt lgkmcnt(0)
	v_fma_f64 v[18:19], v[18:19], -0.5, v[0:1]
	v_fma_f64 v[16:17], v[16:17], -0.5, v[0:1]
	v_add_f64 v[0:1], v[0:1], v[34:35]
	v_fma_f64 v[26:27], v[26:27], -0.5, v[2:3]
	v_fma_f64 v[28:29], v[28:29], -0.5, v[2:3]
	v_add_f64 v[2:3], v[2:3], v[36:37]
	v_fma_f64 v[72:73], v[32:33], s[0:1], v[18:19]
	v_fma_f64 v[18:19], v[32:33], s[4:5], v[18:19]
	v_add_f64 v[0:1], v[0:1], v[6:7]
	v_fma_f64 v[76:77], v[74:75], s[4:5], v[16:17]
	v_fma_f64 v[16:17], v[74:75], s[0:1], v[16:17]
	;; [unrolled: 3-line block ×3, first 2 shown]
	v_add_f64 v[74:75], v[6:7], -v[34:35]
	v_add_f64 v[6:7], v[6:7], -v[10:11]
	v_add_f64 v[0:1], v[0:1], v[10:11]
	v_add_f64 v[10:11], v[10:11], -v[38:39]
	v_add_f64 v[34:35], v[34:35], -v[38:39]
	v_add_f64 v[2:3], v[2:3], v[8:9]
	v_add_f64 v[8:9], v[8:9], -v[40:41]
	v_add_f64 v[0:1], v[0:1], v[38:39]
	v_add_f64 v[74:75], v[74:75], v[10:11]
	v_add_f64 v[10:11], v[36:37], -v[4:5]
	v_add_f64 v[4:5], v[4:5], -v[36:37]
	v_fma_f64 v[36:37], v[34:35], s[4:5], v[26:27]
	v_fma_f64 v[26:27], v[34:35], s[0:1], v[26:27]
	v_add_f64 v[2:3], v[2:3], v[40:41]
	v_fma_f64 v[38:39], v[6:7], s[0:1], v[28:29]
	v_fma_f64 v[40:41], v[32:33], s[2:3], v[76:77]
	;; [unrolled: 1-line block ×4, first 2 shown]
	v_add_f64 v[10:11], v[10:11], v[78:79]
	v_add_f64 v[76:77], v[4:5], v[8:9]
	v_fma_f64 v[36:37], v[6:7], s[12:13], v[36:37]
	v_fma_f64 v[26:27], v[6:7], s[2:3], v[26:27]
	;; [unrolled: 1-line block ×5, first 2 shown]
	v_add_f64 v[30:31], v[42:43], -v[46:47]
	v_fma_f64 v[28:29], v[34:35], s[2:3], v[28:29]
	v_add_f64 v[34:35], v[44:45], -v[48:49]
	v_add_f64 v[72:73], v[44:45], -v[56:57]
	v_fma_f64 v[16:17], v[74:75], s[14:15], v[40:41]
	v_add_f64 v[78:79], v[46:47], -v[50:51]
	v_fma_f64 v[6:7], v[10:11], s[14:15], v[36:37]
	v_fma_f64 v[10:11], v[10:11], s[14:15], v[26:27]
	;; [unrolled: 1-line block ×3, first 2 shown]
	v_add_f64 v[32:33], v[54:55], -v[50:51]
	v_fma_f64 v[18:19], v[76:77], s[14:15], v[38:39]
	v_add_f64 v[36:37], v[56:57], -v[52:53]
	v_add_f64 v[74:75], v[48:49], -v[52:53]
	v_fma_f64 v[28:29], v[76:77], s[14:15], v[28:29]
	v_add_f64 v[76:77], v[42:43], -v[54:55]
	v_add_f64 v[38:39], v[30:31], v[32:33]
	v_add_f64 v[30:31], v[46:47], v[50:51]
	;; [unrolled: 1-line block ×4, first 2 shown]
	v_fma_f64 v[34:35], v[30:31], -0.5, v[12:13]
	v_fma_f64 v[40:41], v[32:33], -0.5, v[14:15]
	v_fma_f64 v[30:31], v[72:73], s[0:1], v[34:35]
	v_fma_f64 v[34:35], v[72:73], s[4:5], v[34:35]
	;; [unrolled: 1-line block ×10, first 2 shown]
	v_add_f64 v[38:39], v[42:43], v[54:55]
	v_fma_f64 v[32:33], v[36:37], s[14:15], v[32:33]
	v_fma_f64 v[36:37], v[36:37], s[14:15], v[40:41]
	v_add_f64 v[40:41], v[44:45], v[56:57]
	v_fma_f64 v[38:39], v[38:39], -0.5, v[12:13]
	v_add_f64 v[12:13], v[12:13], v[42:43]
	v_add_f64 v[42:43], v[46:47], -v[42:43]
	v_fma_f64 v[40:41], v[40:41], -0.5, v[14:15]
	v_add_f64 v[14:15], v[14:15], v[44:45]
	v_add_f64 v[44:45], v[48:49], -v[44:45]
	v_add_f64 v[12:13], v[12:13], v[46:47]
	v_fma_f64 v[46:47], v[74:75], s[4:5], v[38:39]
	v_fma_f64 v[38:39], v[74:75], s[0:1], v[38:39]
	v_add_f64 v[14:15], v[14:15], v[48:49]
	v_fma_f64 v[48:49], v[78:79], s[0:1], v[40:41]
	v_fma_f64 v[40:41], v[78:79], s[4:5], v[40:41]
	v_add_f64 v[12:13], v[12:13], v[50:51]
	v_add_f64 v[50:51], v[50:51], -v[54:55]
	v_fma_f64 v[46:47], v[72:73], s[2:3], v[46:47]
	v_add_f64 v[14:15], v[14:15], v[52:53]
	v_fma_f64 v[48:49], v[76:77], s[12:13], v[48:49]
	v_add_f64 v[12:13], v[12:13], v[54:55]
	v_add_f64 v[42:43], v[42:43], v[50:51]
	v_fma_f64 v[50:51], v[72:73], s[12:13], v[38:39]
	v_add_f64 v[38:39], v[52:53], -v[56:57]
	v_fma_f64 v[52:53], v[76:77], s[2:3], v[40:41]
	v_add_f64 v[14:15], v[14:15], v[56:57]
	v_add_f64 v[72:73], v[64:65], -v[68:69]
	v_add_f64 v[76:77], v[60:61], -v[70:71]
	v_add_f64 v[44:45], v[44:45], v[38:39]
	v_fma_f64 v[38:39], v[42:43], s[14:15], v[46:47]
	v_fma_f64 v[42:43], v[42:43], s[14:15], v[50:51]
	v_add_f64 v[46:47], v[62:63], -v[58:59]
	v_add_f64 v[50:51], v[64:65], -v[60:61]
	v_fma_f64 v[40:41], v[44:45], s[14:15], v[48:49]
	v_fma_f64 v[44:45], v[44:45], s[14:15], v[52:53]
	v_add_f64 v[48:49], v[66:67], -v[20:21]
	v_add_f64 v[52:53], v[68:69], -v[70:71]
	v_add_f64 v[54:55], v[46:47], v[48:49]
	v_add_f64 v[56:57], v[50:51], v[52:53]
	;; [unrolled: 1-line block ×6, first 2 shown]
	v_fma_f64 v[46:47], v[46:47], -0.5, v[22:23]
	v_fma_f64 v[48:49], v[48:49], -0.5, v[24:25]
	;; [unrolled: 1-line block ×4, first 2 shown]
	v_add_f64 v[22:23], v[22:23], v[58:59]
	v_add_f64 v[24:25], v[24:25], v[60:61]
	v_add_f64 v[60:61], v[60:61], -v[64:65]
	v_fma_f64 v[74:75], v[72:73], s[4:5], v[46:47]
	v_fma_f64 v[46:47], v[72:73], s[0:1], v[46:47]
	v_add_f64 v[22:23], v[22:23], v[62:63]
	v_add_f64 v[24:25], v[24:25], v[64:65]
	v_add_f64 v[64:65], v[62:63], -v[66:67]
	v_add_f64 v[62:63], v[58:59], -v[62:63]
	;; [unrolled: 1-line block ×3, first 2 shown]
	v_fma_f64 v[74:75], v[76:77], s[2:3], v[74:75]
	v_fma_f64 v[78:79], v[76:77], s[12:13], v[46:47]
	;; [unrolled: 1-line block ×4, first 2 shown]
	v_add_f64 v[22:23], v[22:23], v[66:67]
	v_add_f64 v[24:25], v[24:25], v[68:69]
	v_add_f64 v[66:67], v[20:21], -v[66:67]
	v_add_f64 v[20:21], v[22:23], v[20:21]
	v_add_f64 v[22:23], v[24:25], v[70:71]
	v_add_f64 v[24:25], v[70:71], -v[68:69]
	v_fma_f64 v[70:71], v[58:59], s[4:5], v[52:53]
	v_fma_f64 v[68:69], v[64:65], s[0:1], v[48:49]
	v_fma_f64 v[48:49], v[64:65], s[4:5], v[48:49]
	v_fma_f64 v[52:53], v[58:59], s[0:1], v[52:53]
	v_add_f64 v[62:63], v[62:63], v[66:67]
	v_fma_f64 v[66:67], v[72:73], s[2:3], v[46:47]
	v_fma_f64 v[72:73], v[72:73], s[12:13], v[50:51]
	;; [unrolled: 1-line block ×4, first 2 shown]
	s_mul_hi_u32 s1, s8, 0x87
	s_mul_i32 s4, s8, 0x87
	v_add_f64 v[24:25], v[60:61], v[24:25]
	v_fma_f64 v[60:61], v[64:65], s[12:13], v[70:71]
	v_fma_f64 v[68:69], v[58:59], s[12:13], v[68:69]
	;; [unrolled: 1-line block ×4, first 2 shown]
	s_mov_b32 s2, 0x68012abd
	v_fma_f64 v[50:51], v[62:63], s[14:15], v[66:67]
	s_mov_b32 s3, 0x3f42abd5
	v_fma_f64 v[52:53], v[24:25], s[14:15], v[60:61]
	v_fma_f64 v[48:49], v[56:57], s[14:15], v[68:69]
	;; [unrolled: 1-line block ×5, first 2 shown]
	ds_write_b128 v192, v[0:3]
	ds_write_b128 v192, v[4:7] offset:5616
	ds_write_b128 v192, v[16:19] offset:11232
	;; [unrolled: 1-line block ×14, first 2 shown]
	s_waitcnt lgkmcnt(0)
	s_barrier
	buffer_gl0_inv
	ds_read_b128 v[0:3], v192
	ds_read_b128 v[4:7], v192 offset:2160
	ds_read_b128 v[8:11], v192 offset:4320
	s_clause 0x9
	buffer_load_dword v33, off, s[48:51], 0 offset:272
	buffer_load_dword v34, off, s[48:51], 0 offset:276
	;; [unrolled: 1-line block ×10, first 2 shown]
	s_waitcnt vmcnt(6) lgkmcnt(2)
	v_mul_f64 v[16:17], v[35:36], v[2:3]
	v_mul_f64 v[18:19], v[35:36], v[0:1]
	s_waitcnt vmcnt(5)
	v_mov_b32_e32 v30, v12
	s_waitcnt vmcnt(4)
	ds_read_b128 v[12:15], v192 offset:6480
	s_clause 0x4
	buffer_load_dword v35, off, s[48:51], 0 offset:448
	buffer_load_dword v36, off, s[48:51], 0 offset:452
	;; [unrolled: 1-line block ×5, first 2 shown]
	s_waitcnt vmcnt(5) lgkmcnt(2)
	v_mul_f64 v[22:23], v[41:42], v[6:7]
	v_mul_f64 v[24:25], v[41:42], v[4:5]
	v_mad_u64_u32 v[20:21], null, s10, v30, 0
	v_fma_f64 v[16:17], v[33:34], v[0:1], v[16:17]
	v_fma_f64 v[18:19], v[33:34], v[2:3], -v[18:19]
	ds_read_b128 v[0:3], v192 offset:8640
	s_clause 0x3
	buffer_load_dword v45, off, s[48:51], 0 offset:432
	buffer_load_dword v46, off, s[48:51], 0 offset:436
	;; [unrolled: 1-line block ×4, first 2 shown]
	v_mad_u64_u32 v[30:31], null, s11, v30, v[21:22]
	v_fma_f64 v[22:23], v[39:40], v[4:5], v[22:23]
	v_fma_f64 v[24:25], v[39:40], v[6:7], -v[24:25]
	v_mov_b32_e32 v21, v30
	v_lshlrev_b64 v[20:21], 4, v[20:21]
	v_mul_f64 v[4:5], v[16:17], s[2:3]
	v_mul_f64 v[6:7], v[18:19], s[2:3]
	v_add_co_u32 v39, s0, s6, v20
	v_add_co_ci_u32_e64 v40, s0, s7, v21, s0
	s_mul_i32 s0, s9, 0x87
	v_mul_f64 v[16:17], v[22:23], s[2:3]
	v_mul_f64 v[18:19], v[24:25], s[2:3]
	s_add_i32 s5, s1, s0
	s_lshl_b64 s[4:5], s[4:5], 4
	s_waitcnt vmcnt(5) lgkmcnt(2)
	v_mul_f64 v[26:27], v[37:38], v[10:11]
	v_mul_f64 v[28:29], v[37:38], v[8:9]
	s_waitcnt vmcnt(4)
	v_mad_u64_u32 v[31:32], null, s8, v154, 0
	v_mov_b32_e32 v30, v32
	v_mad_u64_u32 v[32:33], null, s9, v154, v[30:31]
	s_waitcnt vmcnt(0) lgkmcnt(1)
	v_mul_f64 v[33:34], v[47:48], v[14:15]
	v_fma_f64 v[26:27], v[35:36], v[8:9], v[26:27]
	v_fma_f64 v[28:29], v[35:36], v[10:11], -v[28:29]
	ds_read_b128 v[8:11], v192 offset:10800
	s_clause 0x3
	buffer_load_dword v41, off, s[48:51], 0 offset:416
	buffer_load_dword v42, off, s[48:51], 0 offset:420
	buffer_load_dword v43, off, s[48:51], 0 offset:424
	buffer_load_dword v44, off, s[48:51], 0 offset:428
	v_mul_f64 v[35:36], v[47:48], v[12:13]
	v_lshlrev_b64 v[30:31], 4, v[31:32]
	v_add_co_u32 v30, s0, v39, v30
	v_add_co_ci_u32_e64 v31, s0, v40, v31, s0
	v_add_co_u32 v32, s0, v30, s4
	v_mul_f64 v[20:21], v[26:27], s[2:3]
	v_mul_f64 v[22:23], v[28:29], s[2:3]
	v_fma_f64 v[26:27], v[45:46], v[12:13], v[33:34]
	v_add_co_ci_u32_e64 v33, s0, s5, v31, s0
	v_fma_f64 v[28:29], v[45:46], v[14:15], -v[35:36]
	ds_read_b128 v[12:15], v192 offset:12960
	s_clause 0x3
	buffer_load_dword v52, off, s[48:51], 0 offset:320
	buffer_load_dword v53, off, s[48:51], 0 offset:324
	;; [unrolled: 1-line block ×4, first 2 shown]
	v_add_co_u32 v36, s0, v32, s4
	global_store_dwordx4 v[30:31], v[4:7], off
	v_mul_f64 v[4:5], v[26:27], s[2:3]
	v_mul_f64 v[6:7], v[28:29], s[2:3]
	s_waitcnt vmcnt(4) lgkmcnt(2)
	v_mul_f64 v[37:38], v[43:44], v[2:3]
	v_mul_f64 v[24:25], v[43:44], v[0:1]
	v_fma_f64 v[34:35], v[41:42], v[0:1], v[37:38]
	v_add_co_ci_u32_e64 v37, s0, s5, v33, s0
	v_add_co_u32 v50, s0, v36, s4
	v_fma_f64 v[40:41], v[41:42], v[2:3], -v[24:25]
	ds_read_b128 v[0:3], v192 offset:15120
	global_store_dwordx4 v[32:33], v[16:19], off
	global_store_dwordx4 v[36:37], v[20:23], off
	s_clause 0x3
	buffer_load_dword v56, off, s[48:51], 0 offset:304
	buffer_load_dword v57, off, s[48:51], 0 offset:308
	;; [unrolled: 1-line block ×4, first 2 shown]
	ds_read_b128 v[16:19], v192 offset:17280
	ds_read_b128 v[20:23], v192 offset:19440
	;; [unrolled: 1-line block ×3, first 2 shown]
	v_add_co_ci_u32_e64 v51, s0, s5, v37, s0
	ds_read_b128 v[28:31], v192 offset:23760
	ds_read_b128 v[36:39], v192 offset:25920
	s_clause 0x7
	buffer_load_dword v68, off, s[48:51], 0 offset:288
	buffer_load_dword v69, off, s[48:51], 0 offset:292
	;; [unrolled: 1-line block ×8, first 2 shown]
	s_waitcnt vmcnt(12) lgkmcnt(7)
	v_mul_f64 v[42:43], v[54:55], v[10:11]
	v_mul_f64 v[44:45], v[54:55], v[8:9]
	;; [unrolled: 1-line block ×4, first 2 shown]
	v_fma_f64 v[8:9], v[52:53], v[8:9], v[42:43]
	v_fma_f64 v[10:11], v[52:53], v[10:11], -v[44:45]
	v_add_co_u32 v44, s0, v50, s4
	v_add_co_ci_u32_e64 v45, s0, s5, v51, s0
	s_waitcnt vmcnt(8) lgkmcnt(6)
	v_mul_f64 v[46:47], v[58:59], v[14:15]
	v_mul_f64 v[48:49], v[58:59], v[12:13]
	s_waitcnt vmcnt(4) lgkmcnt(5)
	v_mul_f64 v[40:41], v[70:71], v[2:3]
	v_mul_f64 v[42:43], v[70:71], v[0:1]
	;; [unrolled: 3-line block ×3, first 2 shown]
	s_clause 0x7
	buffer_load_dword v70, off, s[48:51], 0 offset:336
	buffer_load_dword v71, off, s[48:51], 0 offset:340
	buffer_load_dword v72, off, s[48:51], 0 offset:344
	buffer_load_dword v73, off, s[48:51], 0 offset:348
	buffer_load_dword v76, off, s[48:51], 0 offset:368
	buffer_load_dword v77, off, s[48:51], 0 offset:372
	buffer_load_dword v78, off, s[48:51], 0 offset:376
	buffer_load_dword v79, off, s[48:51], 0 offset:380
	v_fma_f64 v[12:13], v[56:57], v[12:13], v[46:47]
	v_fma_f64 v[14:15], v[56:57], v[14:15], -v[48:49]
	v_fma_f64 v[16:17], v[74:75], v[16:17], v[52:53]
	v_fma_f64 v[18:19], v[74:75], v[18:19], -v[54:55]
	s_waitcnt vmcnt(4) lgkmcnt(3)
	v_mul_f64 v[46:47], v[72:73], v[22:23]
	s_waitcnt vmcnt(0) lgkmcnt(2)
	v_mul_f64 v[56:57], v[78:79], v[26:27]
	v_mul_f64 v[58:59], v[78:79], v[24:25]
	s_clause 0x3
	buffer_load_dword v78, off, s[48:51], 0 offset:384
	buffer_load_dword v79, off, s[48:51], 0 offset:388
	;; [unrolled: 1-line block ×4, first 2 shown]
	v_mul_f64 v[48:49], v[72:73], v[20:21]
	v_fma_f64 v[20:21], v[70:71], v[20:21], v[46:47]
	v_fma_f64 v[24:25], v[76:77], v[24:25], v[56:57]
	v_fma_f64 v[26:27], v[76:77], v[26:27], -v[58:59]
	v_fma_f64 v[22:23], v[70:71], v[22:23], -v[48:49]
	s_waitcnt vmcnt(0) lgkmcnt(1)
	v_mul_f64 v[60:61], v[80:81], v[30:31]
	v_mul_f64 v[62:63], v[80:81], v[28:29]
	s_clause 0x3
	buffer_load_dword v80, off, s[48:51], 0 offset:400
	buffer_load_dword v81, off, s[48:51], 0 offset:404
	;; [unrolled: 1-line block ×4, first 2 shown]
	global_store_dwordx4 v[50:51], v[4:7], off
	global_store_dwordx4 v[44:45], v[32:35], off
	v_mul_f64 v[4:5], v[8:9], s[2:3]
	v_mul_f64 v[6:7], v[10:11], s[2:3]
	v_fma_f64 v[8:9], v[68:69], v[0:1], v[40:41]
	v_fma_f64 v[10:11], v[68:69], v[2:3], -v[42:43]
	v_add_co_u32 v32, s0, v44, s4
	v_add_co_ci_u32_e64 v33, s0, s5, v45, s0
	v_mul_f64 v[0:1], v[12:13], s[2:3]
	v_mul_f64 v[2:3], v[14:15], s[2:3]
	;; [unrolled: 1-line block ×8, first 2 shown]
	v_fma_f64 v[28:29], v[78:79], v[28:29], v[60:61]
	v_fma_f64 v[30:31], v[78:79], v[30:31], -v[62:63]
	global_store_dwordx4 v[32:33], v[4:7], off
	v_mul_f64 v[8:9], v[8:9], s[2:3]
	v_mul_f64 v[10:11], v[10:11], s[2:3]
	;; [unrolled: 1-line block ×4, first 2 shown]
	s_waitcnt vmcnt(0) lgkmcnt(0)
	v_mul_f64 v[64:65], v[82:83], v[38:39]
	v_mul_f64 v[66:67], v[82:83], v[36:37]
	v_fma_f64 v[34:35], v[80:81], v[36:37], v[64:65]
	v_fma_f64 v[36:37], v[80:81], v[38:39], -v[66:67]
	v_add_co_u32 v38, s0, v32, s4
	v_add_co_ci_u32_e64 v39, s0, s5, v33, s0
	v_add_co_u32 v40, s0, v38, s4
	v_add_co_ci_u32_e64 v41, s0, s5, v39, s0
	global_store_dwordx4 v[38:39], v[0:3], off
	v_add_co_u32 v42, s0, v40, s4
	v_add_co_ci_u32_e64 v43, s0, s5, v41, s0
	global_store_dwordx4 v[40:41], v[8:11], off
	v_mul_f64 v[28:29], v[34:35], s[2:3]
	v_add_co_u32 v34, s0, v42, s4
	v_add_co_ci_u32_e64 v35, s0, s5, v43, s0
	v_mul_f64 v[30:31], v[36:37], s[2:3]
	v_add_co_u32 v4, s0, v34, s4
	v_add_co_ci_u32_e64 v5, s0, s5, v35, s0
	v_add_co_u32 v2, s0, v4, s4
	v_add_co_ci_u32_e64 v3, s0, s5, v5, s0
	;; [unrolled: 2-line block ×3, first 2 shown]
	global_store_dwordx4 v[42:43], v[12:15], off
	global_store_dwordx4 v[34:35], v[16:19], off
	;; [unrolled: 1-line block ×5, first 2 shown]
	s_and_b32 exec_lo, exec_lo, vcc_lo
	s_cbranch_execz .LBB0_15
; %bb.14:
	global_load_dwordx4 v[2:5], v[84:85], off offset:1872
	ds_read_b128 v[6:9], v192 offset:1872
	ds_read_b128 v[10:13], v192 offset:4032
	s_mul_i32 s0, s9, 0xffffa210
	s_sub_i32 s0, s0, s8
	s_waitcnt vmcnt(0) lgkmcnt(1)
	v_mul_f64 v[14:15], v[8:9], v[4:5]
	v_mul_f64 v[4:5], v[6:7], v[4:5]
	v_fma_f64 v[6:7], v[6:7], v[2:3], v[14:15]
	v_fma_f64 v[4:5], v[2:3], v[8:9], -v[4:5]
	v_mul_f64 v[2:3], v[6:7], s[2:3]
	v_mul_f64 v[4:5], v[4:5], s[2:3]
	v_mad_u64_u32 v[6:7], null, 0xffffa210, s8, v[0:1]
	v_add_nc_u32_e32 v7, s0, v7
	global_store_dwordx4 v[6:7], v[2:5], off
	s_clause 0x1
	buffer_load_dword v0, off, s[48:51], 0 offset:176
	buffer_load_dword v1, off, s[48:51], 0 offset:180
	s_waitcnt vmcnt(0)
	global_load_dwordx4 v[0:3], v[0:1], off offset:1984
	s_waitcnt vmcnt(0) lgkmcnt(0)
	v_mul_f64 v[4:5], v[12:13], v[2:3]
	v_mul_f64 v[2:3], v[10:11], v[2:3]
	v_fma_f64 v[4:5], v[10:11], v[0:1], v[4:5]
	v_fma_f64 v[2:3], v[0:1], v[12:13], -v[2:3]
	v_add_co_u32 v12, vcc_lo, v6, s4
	v_add_co_ci_u32_e32 v13, vcc_lo, s5, v7, vcc_lo
	v_mul_f64 v[0:1], v[4:5], s[2:3]
	v_mul_f64 v[2:3], v[2:3], s[2:3]
	global_store_dwordx4 v[12:13], v[0:3], off
	s_clause 0x1
	buffer_load_dword v0, off, s[48:51], 0 offset:256
	buffer_load_dword v1, off, s[48:51], 0 offset:260
	s_waitcnt vmcnt(0)
	global_load_dwordx4 v[0:3], v[0:1], off offset:48
	ds_read_b128 v[4:7], v192 offset:6192
	ds_read_b128 v[8:11], v192 offset:8352
	s_waitcnt vmcnt(0) lgkmcnt(1)
	v_mul_f64 v[14:15], v[6:7], v[2:3]
	v_mul_f64 v[2:3], v[4:5], v[2:3]
	v_fma_f64 v[4:5], v[4:5], v[0:1], v[14:15]
	v_fma_f64 v[2:3], v[0:1], v[6:7], -v[2:3]
	v_mul_f64 v[0:1], v[4:5], s[2:3]
	v_mul_f64 v[2:3], v[2:3], s[2:3]
	v_add_co_u32 v4, vcc_lo, v12, s4
	v_add_co_ci_u32_e32 v5, vcc_lo, s5, v13, vcc_lo
	v_add_co_u32 v12, vcc_lo, v4, s4
	v_add_co_ci_u32_e32 v13, vcc_lo, s5, v5, vcc_lo
	global_store_dwordx4 v[4:5], v[0:3], off
	s_clause 0x1
	buffer_load_dword v0, off, s[48:51], 0 offset:232
	buffer_load_dword v1, off, s[48:51], 0 offset:236
	s_waitcnt vmcnt(0)
	global_load_dwordx4 v[0:3], v[0:1], off offset:160
	s_waitcnt vmcnt(0) lgkmcnt(0)
	v_mul_f64 v[6:7], v[10:11], v[2:3]
	v_mul_f64 v[2:3], v[8:9], v[2:3]
	v_fma_f64 v[6:7], v[8:9], v[0:1], v[6:7]
	v_fma_f64 v[2:3], v[0:1], v[10:11], -v[2:3]
	v_mul_f64 v[0:1], v[6:7], s[2:3]
	v_mul_f64 v[2:3], v[2:3], s[2:3]
	global_store_dwordx4 v[12:13], v[0:3], off
	s_clause 0x1
	buffer_load_dword v0, off, s[48:51], 0 offset:224
	buffer_load_dword v1, off, s[48:51], 0 offset:228
	s_waitcnt vmcnt(0)
	global_load_dwordx4 v[0:3], v[0:1], off offset:272
	ds_read_b128 v[4:7], v192 offset:10512
	ds_read_b128 v[8:11], v192 offset:12672
	s_waitcnt vmcnt(0) lgkmcnt(1)
	v_mul_f64 v[14:15], v[6:7], v[2:3]
	v_mul_f64 v[2:3], v[4:5], v[2:3]
	v_fma_f64 v[4:5], v[4:5], v[0:1], v[14:15]
	v_fma_f64 v[2:3], v[0:1], v[6:7], -v[2:3]
	v_mul_f64 v[0:1], v[4:5], s[2:3]
	v_mul_f64 v[2:3], v[2:3], s[2:3]
	v_add_co_u32 v4, vcc_lo, v12, s4
	v_add_co_ci_u32_e32 v5, vcc_lo, s5, v13, vcc_lo
	v_add_co_u32 v12, vcc_lo, v4, s4
	v_add_co_ci_u32_e32 v13, vcc_lo, s5, v5, vcc_lo
	global_store_dwordx4 v[4:5], v[0:3], off
	s_clause 0x1
	buffer_load_dword v0, off, s[48:51], 0 offset:208
	buffer_load_dword v1, off, s[48:51], 0 offset:212
	s_waitcnt vmcnt(0)
	global_load_dwordx4 v[0:3], v[0:1], off offset:384
	s_waitcnt vmcnt(0) lgkmcnt(0)
	v_mul_f64 v[6:7], v[10:11], v[2:3]
	v_mul_f64 v[2:3], v[8:9], v[2:3]
	v_fma_f64 v[6:7], v[8:9], v[0:1], v[6:7]
	v_fma_f64 v[2:3], v[0:1], v[10:11], -v[2:3]
	;; [unrolled: 32-line block ×4, first 2 shown]
	v_mul_f64 v[0:1], v[6:7], s[2:3]
	v_mul_f64 v[2:3], v[2:3], s[2:3]
	global_store_dwordx4 v[12:13], v[0:3], off
	s_clause 0x1
	buffer_load_dword v0, off, s[48:51], 0 offset:240
	buffer_load_dword v1, off, s[48:51], 0 offset:244
	s_waitcnt vmcnt(0)
	global_load_dwordx4 v[0:3], v[0:1], off offset:944
	ds_read_b128 v[4:7], v192 offset:23472
	ds_read_b128 v[8:11], v192 offset:25632
	s_waitcnt vmcnt(0) lgkmcnt(1)
	v_mul_f64 v[14:15], v[6:7], v[2:3]
	v_mul_f64 v[2:3], v[4:5], v[2:3]
	v_fma_f64 v[4:5], v[4:5], v[0:1], v[14:15]
	v_fma_f64 v[2:3], v[0:1], v[6:7], -v[2:3]
	v_mul_f64 v[0:1], v[4:5], s[2:3]
	v_mul_f64 v[2:3], v[2:3], s[2:3]
	v_add_co_u32 v4, vcc_lo, v12, s4
	v_add_co_ci_u32_e32 v5, vcc_lo, s5, v13, vcc_lo
	global_store_dwordx4 v[4:5], v[0:3], off
	s_clause 0x1
	buffer_load_dword v0, off, s[48:51], 0 offset:216
	buffer_load_dword v1, off, s[48:51], 0 offset:220
	s_waitcnt vmcnt(0)
	global_load_dwordx4 v[0:3], v[0:1], off offset:1056
	s_waitcnt vmcnt(0) lgkmcnt(0)
	v_mul_f64 v[6:7], v[10:11], v[2:3]
	v_mul_f64 v[2:3], v[8:9], v[2:3]
	v_fma_f64 v[6:7], v[8:9], v[0:1], v[6:7]
	v_fma_f64 v[2:3], v[0:1], v[10:11], -v[2:3]
	v_add_co_u32 v8, vcc_lo, v4, s4
	v_add_co_ci_u32_e32 v9, vcc_lo, s5, v5, vcc_lo
	v_mul_f64 v[0:1], v[6:7], s[2:3]
	v_mul_f64 v[2:3], v[2:3], s[2:3]
	global_store_dwordx4 v[8:9], v[0:3], off
	s_clause 0x1
	buffer_load_dword v0, off, s[48:51], 0 offset:752
	buffer_load_dword v1, off, s[48:51], 0 offset:756
	ds_read_b128 v[4:7], v192 offset:27792
	s_waitcnt vmcnt(0)
	global_load_dwordx4 v[0:3], v[0:1], off offset:1168
	s_waitcnt vmcnt(0) lgkmcnt(0)
	v_mul_f64 v[10:11], v[6:7], v[2:3]
	v_mul_f64 v[2:3], v[4:5], v[2:3]
	v_fma_f64 v[4:5], v[4:5], v[0:1], v[10:11]
	v_fma_f64 v[2:3], v[0:1], v[6:7], -v[2:3]
	v_mul_f64 v[0:1], v[4:5], s[2:3]
	v_mul_f64 v[2:3], v[2:3], s[2:3]
	v_add_co_u32 v4, vcc_lo, v8, s4
	v_add_co_ci_u32_e32 v5, vcc_lo, s5, v9, vcc_lo
	global_store_dwordx4 v[4:5], v[0:3], off
.LBB0_15:
	s_endpgm
	.section	.rodata,"a",@progbits
	.p2align	6, 0x0
	.amdhsa_kernel bluestein_single_fwd_len1755_dim1_dp_op_CI_CI
		.amdhsa_group_segment_fixed_size 28080
		.amdhsa_private_segment_fixed_size 768
		.amdhsa_kernarg_size 104
		.amdhsa_user_sgpr_count 6
		.amdhsa_user_sgpr_private_segment_buffer 1
		.amdhsa_user_sgpr_dispatch_ptr 0
		.amdhsa_user_sgpr_queue_ptr 0
		.amdhsa_user_sgpr_kernarg_segment_ptr 1
		.amdhsa_user_sgpr_dispatch_id 0
		.amdhsa_user_sgpr_flat_scratch_init 0
		.amdhsa_user_sgpr_private_segment_size 0
		.amdhsa_wavefront_size32 1
		.amdhsa_uses_dynamic_stack 0
		.amdhsa_system_sgpr_private_segment_wavefront_offset 1
		.amdhsa_system_sgpr_workgroup_id_x 1
		.amdhsa_system_sgpr_workgroup_id_y 0
		.amdhsa_system_sgpr_workgroup_id_z 0
		.amdhsa_system_sgpr_workgroup_info 0
		.amdhsa_system_vgpr_workitem_id 0
		.amdhsa_next_free_vgpr 256
		.amdhsa_next_free_sgpr 52
		.amdhsa_reserve_vcc 1
		.amdhsa_reserve_flat_scratch 0
		.amdhsa_float_round_mode_32 0
		.amdhsa_float_round_mode_16_64 0
		.amdhsa_float_denorm_mode_32 3
		.amdhsa_float_denorm_mode_16_64 3
		.amdhsa_dx10_clamp 1
		.amdhsa_ieee_mode 1
		.amdhsa_fp16_overflow 0
		.amdhsa_workgroup_processor_mode 1
		.amdhsa_memory_ordered 1
		.amdhsa_forward_progress 0
		.amdhsa_shared_vgpr_count 0
		.amdhsa_exception_fp_ieee_invalid_op 0
		.amdhsa_exception_fp_denorm_src 0
		.amdhsa_exception_fp_ieee_div_zero 0
		.amdhsa_exception_fp_ieee_overflow 0
		.amdhsa_exception_fp_ieee_underflow 0
		.amdhsa_exception_fp_ieee_inexact 0
		.amdhsa_exception_int_div_zero 0
	.end_amdhsa_kernel
	.text
.Lfunc_end0:
	.size	bluestein_single_fwd_len1755_dim1_dp_op_CI_CI, .Lfunc_end0-bluestein_single_fwd_len1755_dim1_dp_op_CI_CI
                                        ; -- End function
	.section	.AMDGPU.csdata,"",@progbits
; Kernel info:
; codeLenInByte = 39280
; NumSgprs: 54
; NumVgprs: 256
; ScratchSize: 768
; MemoryBound: 0
; FloatMode: 240
; IeeeMode: 1
; LDSByteSize: 28080 bytes/workgroup (compile time only)
; SGPRBlocks: 6
; VGPRBlocks: 31
; NumSGPRsForWavesPerEU: 54
; NumVGPRsForWavesPerEU: 256
; Occupancy: 4
; WaveLimiterHint : 1
; COMPUTE_PGM_RSRC2:SCRATCH_EN: 1
; COMPUTE_PGM_RSRC2:USER_SGPR: 6
; COMPUTE_PGM_RSRC2:TRAP_HANDLER: 0
; COMPUTE_PGM_RSRC2:TGID_X_EN: 1
; COMPUTE_PGM_RSRC2:TGID_Y_EN: 0
; COMPUTE_PGM_RSRC2:TGID_Z_EN: 0
; COMPUTE_PGM_RSRC2:TIDIG_COMP_CNT: 0
	.text
	.p2alignl 6, 3214868480
	.fill 48, 4, 3214868480
	.type	__hip_cuid_d7c57e7c0b9eebf2,@object ; @__hip_cuid_d7c57e7c0b9eebf2
	.section	.bss,"aw",@nobits
	.globl	__hip_cuid_d7c57e7c0b9eebf2
__hip_cuid_d7c57e7c0b9eebf2:
	.byte	0                               ; 0x0
	.size	__hip_cuid_d7c57e7c0b9eebf2, 1

	.ident	"AMD clang version 19.0.0git (https://github.com/RadeonOpenCompute/llvm-project roc-6.4.0 25133 c7fe45cf4b819c5991fe208aaa96edf142730f1d)"
	.section	".note.GNU-stack","",@progbits
	.addrsig
	.addrsig_sym __hip_cuid_d7c57e7c0b9eebf2
	.amdgpu_metadata
---
amdhsa.kernels:
  - .args:
      - .actual_access:  read_only
        .address_space:  global
        .offset:         0
        .size:           8
        .value_kind:     global_buffer
      - .actual_access:  read_only
        .address_space:  global
        .offset:         8
        .size:           8
        .value_kind:     global_buffer
      - .actual_access:  read_only
        .address_space:  global
        .offset:         16
        .size:           8
        .value_kind:     global_buffer
      - .actual_access:  read_only
        .address_space:  global
        .offset:         24
        .size:           8
        .value_kind:     global_buffer
      - .actual_access:  read_only
        .address_space:  global
        .offset:         32
        .size:           8
        .value_kind:     global_buffer
      - .offset:         40
        .size:           8
        .value_kind:     by_value
      - .address_space:  global
        .offset:         48
        .size:           8
        .value_kind:     global_buffer
      - .address_space:  global
        .offset:         56
        .size:           8
        .value_kind:     global_buffer
      - .address_space:  global
        .offset:         64
        .size:           8
        .value_kind:     global_buffer
      - .address_space:  global
        .offset:         72
        .size:           8
        .value_kind:     global_buffer
      - .offset:         80
        .size:           4
        .value_kind:     by_value
      - .address_space:  global
        .offset:         88
        .size:           8
        .value_kind:     global_buffer
      - .address_space:  global
        .offset:         96
        .size:           8
        .value_kind:     global_buffer
    .group_segment_fixed_size: 28080
    .kernarg_segment_align: 8
    .kernarg_segment_size: 104
    .language:       OpenCL C
    .language_version:
      - 2
      - 0
    .max_flat_workgroup_size: 117
    .name:           bluestein_single_fwd_len1755_dim1_dp_op_CI_CI
    .private_segment_fixed_size: 768
    .sgpr_count:     54
    .sgpr_spill_count: 0
    .symbol:         bluestein_single_fwd_len1755_dim1_dp_op_CI_CI.kd
    .uniform_work_group_size: 1
    .uses_dynamic_stack: false
    .vgpr_count:     256
    .vgpr_spill_count: 235
    .wavefront_size: 32
    .workgroup_processor_mode: 1
amdhsa.target:   amdgcn-amd-amdhsa--gfx1030
amdhsa.version:
  - 1
  - 2
...

	.end_amdgpu_metadata
